;; amdgpu-corpus repo=ROCm/Tensile kind=harvested arch=n/a opt=n/a

/******************************************/
/* Function Prefix                        */
/******************************************/



/******************************************/
/* Begin Kernel                           */
/******************************************/

// Component.Signature.SignatureDefault
.amdgcn_target "amdgcn-amd-amdhsa--gfx906"
.text
.protected Cijk_Alik_Bljk_DB_MT128x128x8_SE_APM1_AF0EM1_AF1EM1_AMAS3_ASAE01_ASCE01_ASEM1_BL1_DTLA0_DTLB0_EPS1_FL1_GLVWA2_GLVWB2_GRVW2_GSU16_GSUASB_ISA906_IU1_K1_KLA_LPA0_LPB0_LDL1_LRVW2_MDA1_MMFGLC_NLCA1_NLCB1_ONLL2_PK0_PGR1_PLR1_SU32_SUM0_SUS256_SVW4_SNLL0_TT4_8_USFGROn1_VAW1_VSn1_VW2_VWB2_WG32_16_1_WGM1
.globl Cijk_Alik_Bljk_DB_MT128x128x8_SE_APM1_AF0EM1_AF1EM1_AMAS3_ASAE01_ASCE01_ASEM1_BL1_DTLA0_DTLB0_EPS1_FL1_GLVWA2_GLVWB2_GRVW2_GSU16_GSUASB_ISA906_IU1_K1_KLA_LPA0_LPB0_LDL1_LRVW2_MDA1_MMFGLC_NLCA1_NLCB1_ONLL2_PK0_PGR1_PLR1_SU32_SUM0_SUS256_SVW4_SNLL0_TT4_8_USFGROn1_VAW1_VSn1_VW2_VWB2_WG32_16_1_WGM1
.p2align 8
.type Cijk_Alik_Bljk_DB_MT128x128x8_SE_APM1_AF0EM1_AF1EM1_AMAS3_ASAE01_ASCE01_ASEM1_BL1_DTLA0_DTLB0_EPS1_FL1_GLVWA2_GLVWB2_GRVW2_GSU16_GSUASB_ISA906_IU1_K1_KLA_LPA0_LPB0_LDL1_LRVW2_MDA1_MMFGLC_NLCA1_NLCB1_ONLL2_PK0_PGR1_PLR1_SU32_SUM0_SUS256_SVW4_SNLL0_TT4_8_USFGROn1_VAW1_VSn1_VW2_VWB2_WG32_16_1_WGM1,@function
.section .rodata,#alloc
.p2align 6
.amdhsa_kernel Cijk_Alik_Bljk_DB_MT128x128x8_SE_APM1_AF0EM1_AF1EM1_AMAS3_ASAE01_ASCE01_ASEM1_BL1_DTLA0_DTLB0_EPS1_FL1_GLVWA2_GLVWB2_GRVW2_GSU16_GSUASB_ISA906_IU1_K1_KLA_LPA0_LPB0_LDL1_LRVW2_MDA1_MMFGLC_NLCA1_NLCB1_ONLL2_PK0_PGR1_PLR1_SU32_SUM0_SUS256_SVW4_SNLL0_TT4_8_USFGROn1_VAW1_VSn1_VW2_VWB2_WG32_16_1_WGM1
  .amdhsa_user_sgpr_kernarg_segment_ptr 1
  .amdhsa_user_sgpr_count 2
  .amdhsa_next_free_vgpr 127 // vgprs
  .amdhsa_next_free_sgpr 84 // sgprs
  .amdhsa_group_segment_fixed_size 32768 // lds bytes
  .amdhsa_private_segment_fixed_size 0
  .amdhsa_system_sgpr_workgroup_id_x 1
  .amdhsa_system_sgpr_workgroup_id_y 1
  .amdhsa_system_sgpr_workgroup_id_z 1
  .amdhsa_system_vgpr_workitem_id 0
  .amdhsa_float_denorm_mode_32 3
  .amdhsa_float_denorm_mode_16_64 3
.end_amdhsa_kernel
.text

/******************************************/
/* Optimizations and Config:              */
/******************************************/
/* ThreadTile= 4 x 8 */
/* SubGroup= 32 x 16 */
/* VectorWidth=2 */
/* GlobalLoadVectorWidthA=2, GlobalLoadVectorWidthB=2 */
/* DirectToLdsA=False */
/* DirectToLdsB=False */
/* UseSgprForGRO=1 */
.amdgpu_metadata
---
amdhsa.version:
  - 1
  - 1
amdhsa.target: amdgcn-amd-amdhsa--gfx906
amdhsa.kernels:
  - .name: Cijk_Alik_Bljk_DB_MT128x128x8_SE_APM1_AF0EM1_AF1EM1_AMAS3_ASAE01_ASCE01_ASEM1_BL1_DTLA0_DTLB0_EPS1_FL1_GLVWA2_GLVWB2_GRVW2_GSU16_GSUASB_ISA906_IU1_K1_KLA_LPA0_LPB0_LDL1_LRVW2_MDA1_MMFGLC_NLCA1_NLCB1_ONLL2_PK0_PGR1_PLR1_SU32_SUM0_SUS256_SVW4_SNLL0_TT4_8_USFGROn1_VAW1_VSn1_VW2_VWB2_WG32_16_1_WGM1
    .symbol: 'Cijk_Alik_Bljk_DB_MT128x128x8_SE_APM1_AF0EM1_AF1EM1_AMAS3_ASAE01_ASCE01_ASEM1_BL1_DTLA0_DTLB0_EPS1_FL1_GLVWA2_GLVWB2_GRVW2_GSU16_GSUASB_ISA906_IU1_K1_KLA_LPA0_LPB0_LDL1_LRVW2_MDA1_MMFGLC_NLCA1_NLCB1_ONLL2_PK0_PGR1_PLR1_SU32_SUM0_SUS256_SVW4_SNLL0_TT4_8_USFGROn1_VAW1_VSn1_VW2_VWB2_WG32_16_1_WGM1.kd'
    .language:                   OpenCL C
    .language_version:
      - 2
      - 0
    .args:
      - .name:            Tensor2dSizeA
        .size:            8
        .offset:          0
        .value_kind:      by_value
        .value_type:      u64
      - .name:            Tensor2dSizeB
        .size:            8
        .offset:          8
        .value_kind:      by_value
        .value_type:      u64
      - .name:            AddressD
        .size:            8
        .offset:          16
        .value_kind:      by_value
        .value_type:      u64
      - .name:            AddressC
        .size:            8
        .offset:          24
        .value_kind:      by_value
        .value_type:      u64
      - .name:            AddressA
        .size:            8
        .offset:          32
        .value_kind:      by_value
        .value_type:      u64
      - .name:            AddressB
        .size:            8
        .offset:          40
        .value_kind:      by_value
        .value_type:      u64
      - .name:            Alpha
        .size:            8
        .offset:          48
        .value_kind:      by_value
        .value_type:      u64
      - .name:            Beta
        .size:            8
        .offset:          56
        .value_kind:      by_value
        .value_type:      u64
      - .name:            StridesD
        .size:            8
        .offset:          64
        .value_kind:      by_value
        .value_type:      u64
      - .name:            StridesC
        .size:            8
        .offset:          72
        .value_kind:      by_value
        .value_type:      u64
      - .name:            StridesA
        .size:            8
        .offset:          80
        .value_kind:      by_value
        .value_type:      u64
      - .name:            StridesB
        .size:            8
        .offset:          88
        .value_kind:      by_value
        .value_type:      u64
      - .name:            SizesFree
        .size:            12
        .offset:          96
        .value_kind:      by_value
        .value_type:      u96
      - .name:            SizesSum
        .size:            4
        .offset:          108
        .value_kind:      by_value
        .value_type:      u32
      - .name:            OrigStaggerUIter
        .size:            4
        .offset:          112
        .value_kind:      by_value
        .value_type:      u32
      - .name:            NumWorkGroups0
        .size:            4
        .offset:          116
        .value_kind:      by_value
        .value_type:      u32
      - .name:            NumWorkGroups1
        .size:            4
        .offset:          120
        .value_kind:      by_value
        .value_type:      u32
    .group_segment_fixed_size:   32768
    .kernarg_segment_align:      8
    .kernarg_segment_size:       128
    .max_flat_workgroup_size:    512
    .private_segment_fixed_size: 0
    .sgpr_count:                 84
    .sgpr_spill_count:           0
    .vgpr_count:                 127
    .vgpr_spill_count:           0
    .wavefront_size:             64
...
.end_amdgpu_metadata
Cijk_Alik_Bljk_DB_MT128x128x8_SE_APM1_AF0EM1_AF1EM1_AMAS3_ASAE01_ASCE01_ASEM1_BL1_DTLA0_DTLB0_EPS1_FL1_GLVWA2_GLVWB2_GRVW2_GSU16_GSUASB_ISA906_IU1_K1_KLA_LPA0_LPB0_LDL1_LRVW2_MDA1_MMFGLC_NLCA1_NLCB1_ONLL2_PK0_PGR1_PLR1_SU32_SUM0_SUS256_SVW4_SNLL0_TT4_8_USFGROn1_VAW1_VSn1_VW2_VWB2_WG32_16_1_WGM1:

/******************************************/
/* Asm syntax workarounds                 */
/******************************************/
.macro _v_add_co_u32 dst:req, cc:req, src0:req, src1:req, dpp=
   v_add_co_u32 \dst, \cc, \src0, \src1 \dpp
.endm

.macro _v_add_u32 dst:req, src0:req, src1:req, dpp=
   v_add_u32 \dst, \src0, \src1 \dpp
.endm

.macro _v_add_i32 dst:req, src0:req, src1:req, dpp=
   v_add_i32 \dst, \src0, \src1 \dpp
.endm

.macro _v_addc_co_u32 dst:req, ccOut:req, src0:req, ccIn:req, src1:req, dpp=
   v_addc_co_u32 \dst, \ccOut, \src0, \ccIn, \src1 \dpp
.endm

.macro _v_sub_co_u32 dst:req, cc:req, src0:req, src1:req, dpp=
   v_sub_co_u32 \dst, \cc, \src0, \src1 \dpp
.endm

.macro _v_sub_u32 dst:req, src0:req, src1:req, dpp=
   v_sub_u32 \dst, \src0, \src1 \dpp
.endm

.macro _v_sub_i32 dst:req, src0:req, src1:req, dpp=
   v_sub_i32 \dst, \src0, \src1 \dpp
.endm

.macro _v_add_lshl_u32 dst:req, src0:req, src1:req, shiftCnt:req
    v_add_lshl_u32 \dst, \src0, \src1, \shiftCnt
.endm

.macro _v_lshl_add_u32 dst:req, src0:req, src1:req, shiftCnt:req
    v_lshl_add_u32 \dst, \src0, \src1, \shiftCnt
.endm

.macro _v_lshl_or_b32 dst:req, src0:req, shiftCnt:req, src1:req
    v_lshl_or_b32 \dst, \src0, \shiftCnt, \src1
.endm

.macro _v_dot2acc_f32_f16 dst, src0, src1
v_dot2c_f32_f16 \dst, \src0, \src1
.endm

.macro _v_cmpx_lt_i16 dst, src0, src1=
   v_cmpx_lt_i16 \dst, \src0, \src1 
.endm

.macro _v_cmpx_lt_i32 dst, src0, src1=
   v_cmpx_lt_i32 \dst, \src0, \src1 
.endm

.macro _v_cmpx_lt_i64 dst, src0, src1=
   v_cmpx_lt_i64 \dst, \src0, \src1 
.endm

.macro _v_cmpx_lt_u16 dst, src0, src1=
   v_cmpx_lt_u16 \dst, \src0, \src1 
.endm

.macro _v_cmpx_lt_u32 dst, src0, src1=
   v_cmpx_lt_u32 \dst, \src0, \src1 
.endm

.macro _v_cmpx_lt_u64 dst, src0, src1=
   v_cmpx_lt_u64 \dst, \src0, \src1 
.endm

.macro _v_cmpx_eq_i16 dst, src0, src1=
   v_cmpx_eq_i16 \dst, \src0, \src1 
.endm

.macro _v_cmpx_eq_i32 dst, src0, src1=
   v_cmpx_eq_i32 \dst, \src0, \src1 
.endm

.macro _v_cmpx_eq_i64 dst, src0, src1=
   v_cmpx_eq_i64 \dst, \src0, \src1 
.endm

.macro _v_cmpx_eq_u16 dst, src0, src1=
   v_cmpx_eq_u16 \dst, \src0, \src1 
.endm

.macro _v_cmpx_eq_u32 dst, src0, src1=
   v_cmpx_eq_u32 \dst, \src0, \src1 
.endm

.macro _v_cmpx_eq_u64 dst, src0, src1=
   v_cmpx_eq_u64 \dst, \src0, \src1 
.endm

.macro _v_cmpx_le_i16 dst, src0, src1=
   v_cmpx_le_i16 \dst, \src0, \src1 
.endm

.macro _v_cmpx_le_i32 dst, src0, src1=
   v_cmpx_le_i32 \dst, \src0, \src1 
.endm

.macro _v_cmpx_le_i64 dst, src0, src1=
   v_cmpx_le_i64 \dst, \src0, \src1 
.endm

.macro _v_cmpx_le_u16 dst, src0, src1=
   v_cmpx_le_u16 \dst, \src0, \src1 
.endm

.macro _v_cmpx_le_u32 dst, src0, src1=
   v_cmpx_le_u32 \dst, \src0, \src1 
.endm

.macro _v_cmpx_le_u64 dst, src0, src1=
   v_cmpx_le_u64 \dst, \src0, \src1 
.endm

.macro _v_cmpx_gt_i16 dst, src0, src1=
   v_cmpx_gt_i16 \dst, \src0, \src1 
.endm

.macro _v_cmpx_gt_i32 dst, src0, src1=
   v_cmpx_gt_i32 \dst, \src0, \src1 
.endm

.macro _v_cmpx_gt_i64 dst, src0, src1=
   v_cmpx_gt_i64 \dst, \src0, \src1 
.endm

.macro _v_cmpx_gt_u16 dst, src0, src1=
   v_cmpx_gt_u16 \dst, \src0, \src1 
.endm

.macro _v_cmpx_gt_u32 dst, src0, src1=
   v_cmpx_gt_u32 \dst, \src0, \src1 
.endm

.macro _v_cmpx_gt_u64 dst, src0, src1=
   v_cmpx_gt_u64 \dst, \src0, \src1 
.endm

.macro _v_cmpx_ne_i16 dst, src0, src1=
   v_cmpx_ne_i16 \dst, \src0, \src1 
.endm

.macro _v_cmpx_ne_i32 dst, src0, src1=
   v_cmpx_ne_i32 \dst, \src0, \src1 
.endm

.macro _v_cmpx_ne_i64 dst, src0, src1=
   v_cmpx_ne_i64 \dst, \src0, \src1 
.endm

.macro _v_cmpx_ne_u16 dst, src0, src1=
   v_cmpx_ne_u16 \dst, \src0, \src1 
.endm

.macro _v_cmpx_ne_u32 dst, src0, src1=
   v_cmpx_ne_u32 \dst, \src0, \src1 
.endm

.macro _v_cmpx_ne_u64 dst, src0, src1=
   v_cmpx_ne_u64 \dst, \src0, \src1 
.endm

.macro _v_cmpx_lg_i16 dst, src0, src1=
   v_cmpx_lg_i16 \dst, \src0, \src1 
.endm

.macro _v_cmpx_lg_i32 dst, src0, src1=
   v_cmpx_lg_i32 \dst, \src0, \src1 
.endm

.macro _v_cmpx_lg_i64 dst, src0, src1=
   v_cmpx_lg_i64 \dst, \src0, \src1 
.endm

.macro _v_cmpx_lg_u16 dst, src0, src1=
   v_cmpx_lg_u16 \dst, \src0, \src1 
.endm

.macro _v_cmpx_lg_u32 dst, src0, src1=
   v_cmpx_lg_u32 \dst, \src0, \src1 
.endm

.macro _v_cmpx_lg_u64 dst, src0, src1=
   v_cmpx_lg_u64 \dst, \src0, \src1 
.endm

.macro _v_cmpx_ge_i16 dst, src0, src1=
   v_cmpx_ge_i16 \dst, \src0, \src1 
.endm

.macro _v_cmpx_ge_i32 dst, src0, src1=
   v_cmpx_ge_i32 \dst, \src0, \src1 
.endm

.macro _v_cmpx_ge_i64 dst, src0, src1=
   v_cmpx_ge_i64 \dst, \src0, \src1 
.endm

.macro _v_cmpx_ge_u16 dst, src0, src1=
   v_cmpx_ge_u16 \dst, \src0, \src1 
.endm

.macro _v_cmpx_ge_u32 dst, src0, src1=
   v_cmpx_ge_u32 \dst, \src0, \src1 
.endm

.macro _v_cmpx_ge_u64 dst, src0, src1=
   v_cmpx_ge_u64 \dst, \src0, \src1 
.endm

.macro _v_cmpx_o_i16 dst, src0, src1=
   v_cmpx_o_i16 \dst, \src0, \src1 
.endm

.macro _v_cmpx_o_i32 dst, src0, src1=
   v_cmpx_o_i32 \dst, \src0, \src1 
.endm

.macro _v_cmpx_o_i64 dst, src0, src1=
   v_cmpx_o_i64 \dst, \src0, \src1 
.endm

.macro _v_cmpx_o_u16 dst, src0, src1=
   v_cmpx_o_u16 \dst, \src0, \src1 
.endm

.macro _v_cmpx_o_u32 dst, src0, src1=
   v_cmpx_o_u32 \dst, \src0, \src1 
.endm

.macro _v_cmpx_o_u64 dst, src0, src1=
   v_cmpx_o_u64 \dst, \src0, \src1 
.endm

.macro _v_cmpx_u_i16 dst, src0, src1=
   v_cmpx_u_i16 \dst, \src0, \src1 
.endm

.macro _v_cmpx_u_i32 dst, src0, src1=
   v_cmpx_u_i32 \dst, \src0, \src1 
.endm

.macro _v_cmpx_u_i64 dst, src0, src1=
   v_cmpx_u_i64 \dst, \src0, \src1 
.endm

.macro _v_cmpx_u_u16 dst, src0, src1=
   v_cmpx_u_u16 \dst, \src0, \src1 
.endm

.macro _v_cmpx_u_u32 dst, src0, src1=
   v_cmpx_u_u32 \dst, \src0, \src1 
.endm

.macro _v_cmpx_u_u64 dst, src0, src1=
   v_cmpx_u_u64 \dst, \src0, \src1 
.endm
.macro _v_mac_f32 c:req, a:req, b:req
    v_fmac_f32 \c, \a, \b
.endmacro

/* scale global load macros */
.macro _s_load_b32 dst base offset
    s_load_dword \dst \base \offset
.endm

.macro _s_load_b64 dst base offset
    s_load_dwordx2 \dst \base \offset
.endm

.macro _s_load_b128 dst base offset
    s_load_dwordx4 \dst \base \offset
.endm

.macro _s_load_b256 dst base offset
    s_load_dwordx8 \dst \base \offset
.endm

.macro _s_load_b512 dst base offset
    s_load_dwordx16 \dst \base \offset
.endm


/* ds operation macros */
.macro _ds_load_u8 dst src offset
    ds_read_u8 \dst \src \offset
.endm

.macro _ds_load_u8_d16_hi dst src offset
    ds_read_u8_d16_hi \dst \src \offset
.endm

.macro _ds_load_u16 dst src offset
    ds_read_u16 \dst \src \offset
.endm

.macro _ds_load_u16_d16_hi dst src offset
    ds_read_u16_d16_hi \dst \src \offset
.endm

.macro _ds_load_b32 dst src offset
    ds_read_b32 \dst \src \offset
.endm

.macro _ds_load_b64 dst src offset
    ds_read_b64 \dst \src \offset
.endm

.macro _ds_load_b128 dst src offset
    ds_read_b128 \dst \src \offset
.endm

.macro _ds_store_b8 dst src offset
    ds_write_b8 \dst \src \offset
.endm

.macro _ds_store_b8_d16_hi dst src offset
    ds_write_b8_d16_hi \dst \src \offset
.endm

.macro _ds_store_b16 dst src offset
    ds_write_b16 \dst \src \offset
.endm

.macro _ds_store_b16_d16_hi dst src offset
    ds_write_b16_d16_hi \dst \src \offset
.endm

.macro _ds_store_b32 dst src offset
    ds_write_b32 \dst \src \offset
.endm

.macro _ds_store_b64 dst src offset
    ds_write_b64 \dst \src \offset
.endm

.macro _ds_store_b128 dst src offset
    ds_write_b128 \dst \src \offset
.endm

.macro _ds_load2_b32 dst src offset1 offset2
    ds_read2_b32 \dst \src \offset1 \offset2
.endm

.macro _ds_load2_b64 dst src offset1 offset2
    ds_read2_b64 \dst \src \offset1 \offset2
.endm

.macro _ds_store2_b32 dst src offset1 offset2
    ds_write2_b32 \dst \src \offset1 \offset2
.endm

.macro _ds_store2_b64 dst src offset1 offset2
    ds_write2_b64 \dst \src \offset1 \offset2
.endm


/* buffer memory operation macros */
.macro _buffer_load_b32 dst voffset base soffset offen ioffset md0 md1 md2
    buffer_load_dword \dst \voffset \base \soffset \offen \ioffset \md0 \md1 \md2
.endm

.macro _buffer_load_b64 dst voffset base soffset offen ioffset md0 md1 md2
    buffer_load_dwordx2 \dst \voffset \base \soffset \offen \ioffset \md0 \md1 \md2
.endm

.macro _buffer_load_b96 dst voffset base soffset offen ioffset md0 md1 md2
    buffer_load_dwordx3 \dst \voffset \base \soffset \offen \ioffset \md0 \md1 \md2
.endm

.macro _buffer_load_b128 dst voffset base soffset offen ioffset md0 md1 md2
    buffer_load_dwordx4 \dst \voffset \base \soffset \offen \ioffset \md0 \md1 \md2
.endm

.macro _buffer_load_d16_b16 dst voffset base soffset offen ioffset md0 md1 md2
    buffer_load_short_d16 \dst \voffset \base \soffset \offen \ioffset \md0 \md1 \md2
.endm

.macro _buffer_load_d16_hi_b16 dst voffset base soffset offen ioffset md0 md1 md2
    buffer_load_short_d16_hi \dst \voffset \base \soffset \offen \ioffset \md0 \md1 \md2
.endm

.macro _buffer_load_d16_u8 dst voffset base soffset offen ioffset md0 md1 md2
    buffer_load_ubyte_d16 \dst \voffset \base \soffset \offen \ioffset \md0 \md1 \md2
.endm

.macro _buffer_load_d16_hi_u8 dst voffset base soffset offen ioffset md0 md1 md2
    buffer_load_ubyte_d16_hi \dst \voffset \base \soffset \offen \ioffset \md0 \md1 \md2
.endm

.macro _buffer_load_u16 dst voffset base soffset offen ioffset md0 md1 md2
    buffer_load_ushort \dst \voffset \base \soffset \offen \ioffset \md0 \md1 \md2
.endm

.macro _buffer_load_b32_dtl voffset base soffset offen ioffset md0 md1 md2
    buffer_load_dword \voffset \base \soffset \offen \ioffset \md0 \md1 \md2
.endm

.macro _buffer_load_b64_dtl voffset base soffset offen ioffset md0 md1 md2
    buffer_load_dwordx2 \voffset \base \soffset \offen \ioffset \md0 \md1 \md2
.endm

.macro _buffer_load_b128_dtl voffset base soffset offen ioffset md0 md1 md2
    buffer_load_dwordx4 \voffset \base \soffset \offen \ioffset \md0 \md1 \md2
.endm

.macro _buffer_load_u16_dtl voffset base soffset offen ioffset md0 md1 md2
    buffer_load_ushort \voffset \base \soffset \offen \ioffset \md0 \md1 \md2
.endm

.macro _buffer_store_b32 src voffset base soffset offen ioffset md0 md1 md2
    buffer_store_dword \src \voffset \base \soffset \offen \ioffset \md0 \md1 \md2
.endm

.macro _buffer_store_b64 src voffset base soffset offen ioffset md0 md1 md2
    buffer_store_dwordx2 \src \voffset \base \soffset \offen \ioffset \md0 \md1 \md2
.endm

.macro _buffer_store_b96 src voffset base soffset offen ioffset md0 md1 md2
    buffer_store_dwordx3 \src \voffset \base \soffset \offen \ioffset \md0 \md1 \md2
.endm

.macro _buffer_store_b128 src voffset base soffset offen ioffset md0 md1 md2
    buffer_store_dwordx4 \src \voffset \base \soffset \offen \ioffset \md0 \md1 \md2
.endm

.macro _buffer_store_b16 src voffset base soffset offen ioffset md0 md1 md2
    buffer_store_short \src \voffset \base \soffset \offen \ioffset \md0 \md1 \md2
.endm

.macro _buffer_store_d16_hi_b16 src voffset base soffset offen ioffset md0 md1 md2
    buffer_store_short_d16_hi \src \voffset \base \soffset \offen \ioffset \md0 \md1 \md2
.endm

.macro _buffer_store_b8 src voffset base soffset offen ioffset md0 md1 md2
    buffer_store_byte \src \voffset \base \soffset \offen \ioffset \md0 \md1 \md2
.endm

.macro _buffer_store_d16_hi_b8 src voffset base soffset offen ioffset md0 md1 md2
    buffer_store_byte_d16_hi \src \voffset \base \soffset \offen \ioffset \md0 \md1 \md2
.endm

.macro _buffer_atomic_cmpswap_b32 dst voffset base soffset offen ioffset md0 md1 md2
    buffer_atomic_cmpswap \dst \voffset \base \soffset \offen \ioffset \md0 \md1 \md2
.endm

.macro _buffer_atomic_cmpswap_b64 dst voffset base soffset offen ioffset md0 md1 md2
    buffer_atomic_cmpswap_x2 \dst \voffset \base \soffset \offen \ioffset \md0 \md1 \md2
.endm


/* buffer memory operation macros */
.macro _global_load_b32 dst base src ioffset md0 md1 md2
    global_load_dword \dst \base \src \ioffset \md0 \md1 \md2
.endm

.macro _global_load_b64 dst base src ioffset md0 md1 md2
    global_load_dwordx2 \dst \base \src \ioffset \md0 \md1 \md2
.endm

.macro _global_load_b96 dst base src ioffset md0 md1 md2
    global_load_dwordx3 \dst \base \src \ioffset \md0 \md1 \md2
.endm

.macro _global_load_b128 dst base src ioffset md0 md1 md2
    global_load_dwordx4 \dst \base \src \ioffset \md0 \md1 \md2
.endm

.macro _global_load_d16_b16 dst base src ioffset md0 md1 md2
    global_load_short_d16 \dst \base \src \ioffset \md0 \md1 \md2
.endm

.macro _global_load_d16_hi_b16 dst base src ioffset md0 md1 md2
    global_load_short_d16_hi \dst \base \src \ioffset \md0 \md1 \md2
.endm

.macro _global_load_d16_u8 dst base src ioffset md0 md1 md2
    global_load_ubyte_d16 \dst \base \src \ioffset \md0 \md1 \md2
.endm

.macro _global_load_d16_hi_u8 dst base src ioffset md0 md1 md2
    global_load_ubyte_d16_hi \dst \base \src \ioffset \md0 \md1 \md2
.endm

.macro _global_load_u16 dst base src ioffset md0 md1 md2
    global_load_ushort \dst \base \src \ioffset \md0 \md1 \md2
.endm

.macro _global_store_b32 base src src2 md0 md1 md2
    global_store_dword \base \src \src2 \md0 \md1 \md2
.endm

.macro _global_store_b64 base src src2 md0 md1 md2
    global_store_dwordx2 \base \src \src2 \md0 \md1 \md2
.endm

.macro _global_store_b96 base src src2 md0 md1 md2
    global_store_dwordx3 \base \src \src2 \md0 \md1 \md2
.endm

.macro _global_store_b128 base src src2 md0 md1 md2
    global_store_dwordx4 \base \src \src2 \md0 \md1 \md2
.endm

.macro _global_store_d16_b16 base src src2 md0 md1 md2
    global_store_short \base \src \src2 \md0 \md1 \md2
.endm

.macro _global_store_d16_hi_b16 base src src2 md0 md1 md2
    global_store_short_d16_hi \base \src \src2 \md0 \md1 \md2
.endm

.macro _global_store_d16_u8 base src src2 md0 md1 md2
    global_store_ubyte_d16 \base \src \src2 \md0 \md1 \md2
.endm

.macro _global_store_d16_hi_u8 base src src2 md0 md1 md2
    global_store_ubyte_d16_hi \base \src \src2 \md0 \md1 \md2
.endm

.macro _global_store_u16 base src src2 md0 md1 md2
    global_store_ushort \base \src \src2 \md0 \md1 \md2
.endm

.macro _global_atomic_cmpswap_b32 tmp base data src ioffset md
    global_atomic_cmpswap \tmp \base \data \src \ioffset \md
.endm

.macro _global_atomic_cmpswap_b64 tmp base data src ioffset md
    global_atomic_cmpswap_x2 \tmp \base \data \src \ioffset \md
.endm


/******************************************/
/* Magic div and mod functions            */
/******************************************/
.macro V_MAGIC_DIV dstIdx:req, dividend:req, magicNumber:req, magicShift:req, magicA:req
    v_mul_hi_u32 v[\dstIdx+1], \dividend, \magicNumber
    v_mul_lo_u32 v[\dstIdx+0], \dividend, \magicNumber
    v_lshrrev_b64 v[\dstIdx:\dstIdx+1], \magicShift, v[\dstIdx:\dstIdx+1]
.endm

/******************************************/
/* VGPR Assignments                       */
/******************************************/
/* ValuC range: [0-64),  */
.set vgprValuC, 0
/* ValuA/B   Xn=PLR buffer idx,  In=InnerUnroll idx */
.set vgprValuA_X0_I0, 64
.set vgprValuA_X1_I0, 72
.set vgprG2LA, 116
.set vgprValuB_X0_I0, 80
.set vgprValuB_X1_I0, 96
.set vgprG2LB, 120
.set vgprLocalWriteAddrA, 112
.set vgprLocalWriteAddrB, 113
.set vgprGlobalReadOffsetA, 114
.set vgprGlobalReadOffsetB, 115
.set vgprLocalReadAddrA, 124
.set vgprLocalReadAddrB, 125
.set vgprSerial, 126
/* Num VGPR=127 */
/* Num AccVGPR=0 */

/******************************************/
/* SGPR Assignments                       */
/******************************************/
.set sgprKernArgAddress, 0 // (2)
.set sgprWorkGroup0, 2 // (1)
.set sgprWorkGroup1, 3 // (1)
.set sgprWorkGroup2, 4 // (1)
.set sgprGSUSumIdx, 5 // (2)
.set sgprLoopCounterL, 7 // (1)
.set sgprOrigLoopCounter, 8 // (1)
.set sgprSrdA, 12 // (4)
.set sgprSrdB, 16 // (4)
.set sgprSrdD, 20 // (4)
.set sgprSrdC, 24 // (4)
.set sgprTensor2dSizeA, 28 // (2)
.set sgprTensor2dSizeB, 30 // (2)
.set sgprAddressD, 32 // (2)
.set sgprAddressC, 34 // (2)
.set sgprAddressA, 36 // (2)
.set sgprAddressB, 38 // (2)
.set sgprAlpha, 40 // (2)
.set sgprBeta, 42 // (2)
.set sgprStridesD, 44 // (2)
.set sgprStridesC, 46 // (2)
.set sgprStridesA, 48 // (2)
.set sgprStridesB, 50 // (2)
.set sgprSizesFree, 52 // (3)
.set sgprSizesSum, 55 // (1)
.set sgprOrigStaggerUIter, 56 // (1)
.set sgprNumWorkGroups0, 57 // (1)
.set sgprNumWorkGroups1, 58 // (1)
.set sgprShadowLimitA, 0 // (2)
.set sgprShadowLimitB, 32 // (2)
.set sgprStaggerUIter, 9 // (1)
.set sgprWrapUA, 34 // (2)
.set sgprWrapUB, 36 // (2)
.set sgprGlobalReadIncsA, 38 // (1)
.set sgprGlobalReadIncsB, 39 // (1)
/* max SGPR=84 */

/* Size Assignments */
.set sgprSizeI, sgprSizesFree+0
.set sgprSizeJ, sgprSizesFree+1
.set sgprSizeK, sgprSizesFree+2
.set sgprSizeL, sgprSizesSum+0

/* Stride Assignments */
.set constStrideD0I, 1
.set sgprStrideD1J, sgprStridesD+0
.set sgprStrideDK, sgprStridesD+1
.set constStrideC0I, 1
.set sgprStrideC1J, sgprStridesC+0
.set sgprStrideCK, sgprStridesC+1
.set constStrideAL, 1
.set sgprStrideA0I, sgprStridesA+0
.set sgprStrideAK, sgprStridesA+1
.set constStrideBL, 1
.set sgprStrideB1J, sgprStridesB+0
.set sgprStrideBK, sgprStridesB+1

.set MT0, 128
.set MT1, 128
.set DepthU, 8
.set GSU, 16
.set BpeA, 8
.set BpeALog2, 3
.set BpeB, 8
.set BpeBLog2, 3
/* Number of elements to shift-left SRD */
.set SrdShiftLeftA, 2
.set SrdShiftLeftB, 2
/* 2GB limit - set offsets to -1 to exceed this and clamp */
.set BufferLimitA, 0xffffffff
.set BufferLimitB, 0xffffffff
.set BufferOOB, 0xfffff000

/******************************************/
/* Bits 127:96 of SRD.                    */
/* hex: 0x00020000                        */
/* dst_sel_x (3b): 0                      */
/* dst_sel_y (3b): 0                      */
/* dst_sel_z (3b): 0                      */
/* dst_sel_w (3b): 0                      */
/* num_format (3b): 0                     */
/* data_format (4b): 4                    */
/* user_vm_enable (1b): 0                 */
/* user_vm_mode (1b): 0                   */
/* index_stride (2b): 0                   */
/* add_tid_enable (1b): 0                 */
/* _unusedA (3b): 0                       */
/* nv (1b): 0                             */
/* _unusedB (2b): 0                       */
/* type (2b): 0                           */
/******************************************/
.set Srd127_96, 0x00020000

/* Global Offset A */
.macro GLOBAL_OFFSET_A vgprAddr:req vgprOffsetL:req vgprOffset0I:req vgprTmp:req
v_mul_lo_u32 v[\vgprTmp+0], s[sgprStrideA0I], v[\vgprOffset0I] // mul d1 lower
_v_add_co_u32 v[\vgprAddr+0], vcc, v[\vgprOffsetL], v[\vgprTmp+0] // accumulate K lower
_v_add_u32 v[\vgprAddr+0], 0x2, v[\vgprAddr+0]     // add prepad for pointer shift
v_lshlrev_b32 v[\vgprAddr+0], 0x3, v[\vgprAddr+0]  // offset *= bytes/element
.endm

/* Global Offset B */
.macro GLOBAL_OFFSET_B vgprAddr:req vgprOffsetL:req vgprOffset1J:req vgprTmp:req
v_mul_lo_u32 v[\vgprTmp+0], s[sgprStrideB1J], v[\vgprOffset1J] // mul d1 lower
_v_add_co_u32 v[\vgprAddr+0], vcc, v[\vgprOffsetL], v[\vgprTmp+0] // accumulate K lower
_v_add_u32 v[\vgprAddr+0], 0x2, v[\vgprAddr+0]     // add prepad for pointer shift
v_lshlrev_b32 v[\vgprAddr+0], 0x3, v[\vgprAddr+0]  // offset *= bytes/element
.endm

/******************************************/
/* Dynamic Scalar Divide: vQuotient=vDividend/vDivisor; vRemainder=vDividend%vDivisor; */
/******************************************/
.macro DYNAMIC_VECTOR_DIVIDE vQuotient vRemainder vDividend vDivisor vTmp0 vTmp1 sTmp
v_cvt_f32_u32 v[\vQuotient], v[\vDivisor]          // 
v_rcp_f32 v[\vQuotient], v[\vQuotient]             // 
v_mul_f32 v[\vQuotient], 0x4f800000, v[\vQuotient] // 
v_cvt_u32_f32 v[\vQuotient], v[\vQuotient]         // 
v_mul_lo_u32 v[\vRemainder], v[\vDivisor], v[\vQuotient] // 
v_mul_hi_u32 v[\vTmp0], v[\vDivisor], v[\vQuotient] // 
_v_sub_co_u32 v[\vTmp1], vcc, 0x0, v[\vRemainder]  // 
v_cmp_ne_i32 s[\sTmp:\sTmp+1], 0x0, v[\vTmp0]      // 
v_cndmask_b32 v[\vRemainder], v[\vTmp1], v[\vRemainder], s[\sTmp:\sTmp+1] // 
v_mul_hi_u32 v[\vRemainder], v[\vRemainder], v[\vQuotient] // 
_v_sub_co_u32 v[\vTmp0], vcc, v[\vQuotient], v[\vRemainder] // 
_v_add_co_u32 v[\vQuotient], vcc, v[\vQuotient], v[\vRemainder] // 
v_cndmask_b32 v[\vQuotient], v[\vQuotient], v[\vTmp0], s[\sTmp:\sTmp+1] // 
v_mul_hi_u32 v[\vQuotient], v[\vQuotient], v[\vDividend] // 
v_mul_lo_u32 v[\vRemainder], v[\vQuotient], v[\vDivisor] // 
_v_sub_co_u32 v[\vTmp0], vcc, v[\vDividend], v[\vRemainder] // 
v_cmp_ge_u32 s[\sTmp:\sTmp+1], v[\vDividend], v[\vRemainder] // 
_v_add_co_u32 v[\vRemainder], vcc, 0x1, v[\vQuotient] // 
_v_add_co_u32 v[\vTmp1], vcc, -1, v[\vQuotient]    // 
v_cmp_le_u32 vcc, v[\vDivisor], v[\vTmp0]          // 
s_and_b64 vcc, s[\sTmp:\sTmp+1], vcc               // 
v_cndmask_b32 v[\vQuotient], v[\vQuotient], v[\vRemainder], vcc // 
v_cndmask_b32 v[\vQuotient], v[\vTmp1], v[\vQuotient], s[\sTmp:\sTmp+1] // 
v_cmp_ne_i32 vcc, 0x0, v[\vDivisor]                // 
v_cndmask_b32 v[\vQuotient], -1, v[\vQuotient], vcc // final result
v_mul_lo_u32 v[\vRemainder], v[\vQuotient], v[\vDivisor] // 
_v_sub_co_u32 v[\vRemainder], vcc, v[\vDividend], v[\vRemainder] // final result
.endm

/******************************************/
/* 4x8 thread-tile                        */
/******************************************/
.macro MAC_4x8_X0
// Component.MAC.FMA_F64_Plain
v_fma_f64 v[vgprValuC+(0+0*4)*2:(vgprValuC+0+0*4)*2+1], v[vgprValuA_X0_I0+0*2:vgprValuA_X0_I0+0*2+1], v[vgprValuB_X0_I0+0*2:vgprValuB_X0_I0+0*2+1], v[vgprValuC+(0+0*4)*2:(vgprValuC+0+0*4)*2+1]
s_setprio 1 // Raise priority while processing macs
v_fma_f64 v[vgprValuC+(1+0*4)*2:(vgprValuC+1+0*4)*2+1], v[vgprValuA_X0_I0+1*2:vgprValuA_X0_I0+1*2+1], v[vgprValuB_X0_I0+0*2:vgprValuB_X0_I0+0*2+1], v[vgprValuC+(1+0*4)*2:(vgprValuC+1+0*4)*2+1]
v_fma_f64 v[vgprValuC+(2+0*4)*2:(vgprValuC+2+0*4)*2+1], v[vgprValuA_X0_I0+2*2:vgprValuA_X0_I0+2*2+1], v[vgprValuB_X0_I0+0*2:vgprValuB_X0_I0+0*2+1], v[vgprValuC+(2+0*4)*2:(vgprValuC+2+0*4)*2+1]
	;; [unrolled: 1-line block ×31, first 2 shown]
s_setprio 0 // Reset priority after macs
.endm
.macro MAC_4x8_X1
// Component.MAC.FMA_F64_Plain
v_fma_f64 v[vgprValuC+(0+0*4)*2:(vgprValuC+0+0*4)*2+1], v[vgprValuA_X1_I0+0*2:vgprValuA_X1_I0+0*2+1], v[vgprValuB_X1_I0+0*2:vgprValuB_X1_I0+0*2+1], v[vgprValuC+(0+0*4)*2:(vgprValuC+0+0*4)*2+1]
s_setprio 1 // Raise priority while processing macs
v_fma_f64 v[vgprValuC+(1+0*4)*2:(vgprValuC+1+0*4)*2+1], v[vgprValuA_X1_I0+1*2:vgprValuA_X1_I0+1*2+1], v[vgprValuB_X1_I0+0*2:vgprValuB_X1_I0+0*2+1], v[vgprValuC+(1+0*4)*2:(vgprValuC+1+0*4)*2+1]
v_fma_f64 v[vgprValuC+(2+0*4)*2:(vgprValuC+2+0*4)*2+1], v[vgprValuA_X1_I0+2*2:vgprValuA_X1_I0+2*2+1], v[vgprValuB_X1_I0+0*2:vgprValuB_X1_I0+0*2+1], v[vgprValuC+(2+0*4)*2:(vgprValuC+2+0*4)*2+1]
	;; [unrolled: 1-line block ×31, first 2 shown]
s_setprio 0 // Reset priority after macs
.endm


	;; [unrolled: 1-line block ×3, first 2 shown]
/******************************************/
/* Allocate Resources                     */
/******************************************/

Cijk_Alik_Bljk_DB_MT128x128x8_SE_APM1_AF0EM1_AF1EM1_AMAS3_ASAE01_ASCE01_ASEM1_BL1_DTLA0_DTLB0_EPS1_FL1_GLVWA2_GLVWB2_GRVW2_GSU16_GSUASB_ISA906_IU1_K1_KLA_LPA0_LPB0_LDL1_LRVW2_MDA1_MMFGLC_NLCA1_NLCB1_ONLL2_PK0_PGR1_PLR1_SU32_SUM0_SUS256_SVW4_SNLL0_TT4_8_USFGROn1_VAW1_VSn1_VW2_VWB2_WG32_16_1_WGM1_preloaded: // Kernel start when preloading

/* Load Kernel Args */
_s_load_b512 s[28:43], s[sgprKernArgAddress:sgprKernArgAddress+1], 0x0 // 
_s_load_b256 s[44:51], s[sgprKernArgAddress:sgprKernArgAddress+1], 0x40 // 
_s_load_b128 s[52:55], s[sgprKernArgAddress:sgprKernArgAddress+1], 0x60 // 
_s_load_b64 s[56:57], s[sgprKernArgAddress:sgprKernArgAddress+1], 0x70 // 
_s_load_b32 s58, s[sgprKernArgAddress:sgprKernArgAddress+1], 0x78 // 
s_mov_b32 m0, 0x8000                               // LDS clamp at 32768 bytes
v_mov_b32 v[vgprSerial], v0                        // thread serial id

/******************************************/
/* Local Read Addresses                   */
/******************************************/


/* local read addresses: tile assignments a/b */

/*lr0I = serial % SG0I*/
v_lshrrev_b32 v0, 5, v[vgprSerial]                 // v0 = v[vgprSerial] / 32
v_and_b32 v1, 31, v[vgprSerial]                    // v1 = v[vgprSerial] % 32
/*lr1J = (serial / SG1J) % SG1J*/
v_lshrrev_b32 v2, 4, v0                            // v2 = v0 / 16
v_and_b32 v3, 15, v0                               // v3 = v0 % 16


/* local read addresses: final offsets a */

v_lshrrev_b32 v0, 9, v[vgprSerial]                 // LSU offset: sgid = Serial / subGroup(512)
v_lshlrev_b32 v0, 0x7, v0                          // LSU offset: lsuoffset = sgid*(MT0+PAD)
v_lshlrev_b32 v1, 0x1, v1                          // Final Offset: lrAOffset * VW
_v_add_lshl_u32 v[vgprLocalReadAddrA], v0, v1, 0x3 // Final Offset: offset = (lro0*VW+lsuoffset)*bpe


/* local read addresses: final offsets b */

v_lshrrev_b32 v0, 9, v[vgprSerial]                 // LSU offset: sgid = Serial / subGroup(512)
v_lshlrev_b32 v0, 0x7, v0                          // LSU offset: lsuoffset = sgid*(MT1+PAD)
v_lshlrev_b32 v3, 0x1, v3                          // Final Offset: lrBOffset * VW
_v_add_lshl_u32 v[vgprLocalReadAddrB], v0, v3, 0x3 // Final Offset: offset = (lro1*VW+lsuoffset)*bpe


/* local read addresses: declare addresses a */

/* N/A */


/* local read addresses: declare addresses b */

_v_add_co_u32 v[vgprLocalReadAddrB+0], vcc, 0x2000, v[vgprLocalReadAddrB+0] //  += LdsOffsetB (lower)


/* global read addresses: tile offset assignment a */

/* LVCA = 4 */
/* v0 = (local)groA-tile = serial/LVCA (note (wgA*MTA) will be added to SRD) */
/* v1 = groA-unroll = serial%LVCA */
v_lshrrev_b32 v0, 2, v[vgprSerial]                 // v0 = v[vgprSerial] / 4
v_and_b32 v1, 3, v[vgprSerial]                     // v1 = v[vgprSerial] % 4
/* gro-unroll *= glvw */
v_lshlrev_b32 v1, 0x1, v1                          // v1 = v1 * 2
v_mov_b32 v2, v1                                   // copy for GlobalSplitU


/* global read addresses: tile offset assignment b */

/* LVCB = 4 */
/* v3 = (local)groB-tile = serial/LVCB (note (wgB*MTB) will be added to SRD) */
/* v4 = groB-unroll = serial%LVCB */
v_lshrrev_b32 v3, 2, v[vgprSerial]                 // v3 = v[vgprSerial] / 4
v_and_b32 v4, 3, v[vgprSerial]                     // v4 = v[vgprSerial] % 4
/* gro-unroll *= glvw */
v_lshlrev_b32 v4, 0x1, v4                          // v4 = v4 * 2
v_mov_b32 v5, v4                                   // copy for GlobalSplitU


/******************************************/
/* Local Write Addresses                  */
/******************************************/

/* lwaTileAssignmentA = v0 */

/* lwaTileAssignmentB = v3 */

/* lwaUnrollAssignmentA = v2 */

/* lwaUnrollAssignmentB = v5 */


/* local write addresses: first offset a */

v_mul_u32_u24 v[vgprLocalWriteAddrA], 0x80, v2     // lwAL**(MTA + PAD)
_v_add_lshl_u32 v[vgprLocalWriteAddrA], v0, v[vgprLocalWriteAddrA], 0x3 // lwFOA = (lwAA + lwAL*(MT0I+PAD))*bpe


/* local write addresses: first offset b */

v_mul_u32_u24 v[vgprLocalWriteAddrB], 0x80, v5     // lwBL**(MTB + PAD)
_v_add_lshl_u32 v[vgprLocalWriteAddrB], v3, v[vgprLocalWriteAddrB], 0x3 // lwFOB = (lwBB + lwBL*(MT1J+PAD))*bpe
_v_add_co_u32 v[vgprLocalWriteAddrB], vcc, 0x2000, v[vgprLocalWriteAddrB] // lwFOB = lwB1J + lwBL*MT1J + LDS_OFFSET_B=1024*8


	;; [unrolled: 1-line block ×7, first 2 shown]
s_waitcnt lgkmcnt(0)                               // wait for 124 bytes of kern args
s_mov_b64 s[sgprSrdC+0:sgprSrdC+0+1], s[sgprAddressC+0:sgprAddressC+0+1] // copy addressC
s_mov_b64 s[sgprSrdD+0:sgprSrdD+0+1], s[sgprAddressD+0:sgprAddressD+0+1] // copy addressD
s_sub_u32 s[sgprSrdA+0], s[sgprAddressA+0], 16     // pre-pad to make room for possible pointer shift
s_subb_u32 s[sgprSrdA+1], s[sgprAddressA+1], 0     // pre-pad to make room for possible pointer shift
s_sub_u32 s[sgprSrdB+0], s[sgprAddressB+0], 16     // pre-pad to make room for possible pointer shift
s_subb_u32 s[sgprSrdB+1], s[sgprAddressB+1], 0     // pre-pad to make room for possible pointer shift

.set AddressD, UNDEF
.set AddressC, UNDEF
.set AddressA, UNDEF
.set AddressB, UNDEF

/* Short circuit condition if Alpha == 0, then sumDims=0 */
v_cmp_eq_f64 vcc, s[sgprAlpha:sgprAlpha+1], 0.0    // Alpha == 0.0 ?
s_cbranch_vccz label_AlphaNonZero                  // branch if Alpha != 0
s_mov_b32 s[sgprSizesSum+0], 0x0                   // Set summation dim=0 if Alpha == 0
label_AlphaNonZero:


	;; [unrolled: 1-line block ×3, first 2 shown]
/******************************************/
/* Begin setupNewTile, isPap=False           */
/******************************************/


/* global read addresses: work-group */

/* graWorkGroup mapping */
// GSU-not-WGMapRR :nwg1 = (size1J + MT1J - 1) / MT1J;
s_mov_b32 s62, s[sgprWorkGroup1]                   // copying for divisor
s_lshr_b32 s[sgprWorkGroup1], s62, 4               // s[sgprWorkGroup1] = s62 / 16
s_and_b32 s[sgprGSUSumIdx], 15, s62                // s[sgprGSUSumIdx] = s62 % 16


/* global read addresses: unroll assignment a */

/* v1 */


/* global read addresses: unroll assignment b */

/* v4 */


/* global read addresses: other free assignments */

/* s[sgprWorkGroup2] */


/* global read addresses: tile offsets a */


	;; [unrolled: 1-line block ×3, first 2 shown]
/* global read addresses: tile offsets b */


	;; [unrolled: 1-line block ×3, first 2 shown]
/* global read addresses: unroll offsets a */


	;; [unrolled: 1-line block ×3, first 2 shown]
/* global read addresses: unroll offsets b */


	;; [unrolled: 1-line block ×3, first 2 shown]
/* global read addresses: final offsets a */

GLOBAL_OFFSET_A vgprGlobalReadOffsetA+0,  1,  0, 6 // gROA_0_0_0_0


/* global read addresses: final offsets b */

GLOBAL_OFFSET_B vgprGlobalReadOffsetB+0,  4,  3, 6 // gROB_0_0_0_0


/* global read addresses: addresses a */

/* max read offset = size[n] * stride[n-1] */
s_mul_hi_u32 s63, s[sgprWorkGroup0], 128           // WorkGroup[01] * MT
s_mul_i32 s62, s[sgprWorkGroup0], 128              // WorkGroup[01] * MT
s_mul_hi_u32 s63, s62, s[sgprStrideA0I]            // tlu=0, scaled tile-offset by stride
s_mul_i32 s62, s62, s[sgprStrideA0I]               // tlu=0, scaled tile-offset by stride
s_mul_hi_u32 s61, 8, s[sgprGSUSumIdx]              // gsuOffset = DepthU*bpe*GSUSumIdx
s_mul_i32 s60, 8, s[sgprGSUSumIdx]                 // gsuOffset = DepthU*bpe*GSUSumIdx
s_add_u32 s62, s62, s60                            // accum GsuOffset term to tilestart
s_addc_u32 s63, s63, s61                           // accum GsuOffset term to tilestart
s_sub_u32 s[sgprShadowLimitA+0], s[sgprTensor2dSizeA], s62 // sub tileStart
s_subb_u32 s[sgprShadowLimitA+1], s[sgprTensor2dSizeA+1], s63 // sub tileStart
s_lshl_b64 s[sgprShadowLimitA:sgprShadowLimitA+1], s[sgprShadowLimitA:sgprShadowLimitA+1], 0x3 // Set limit to use bytes
s_add_u32 s[sgprShadowLimitA+0], s[sgprShadowLimitA+0], 16 // extend limit for pre-pad
s_addc_u32 s[sgprShadowLimitA+1], s[sgprShadowLimitA+1], 0 // extend limit for pre-pad
s_cmp_eq_u32 s[sgprShadowLimitA+1], 0              // are we within 2^32?
s_cselect_b32 s[sgprSrdA+2], s[sgprShadowLimitA+0], BufferLimitA // Move shadow to real if we are within 2^32
s_mul_hi_u32 s61, s[sgprStrideAK], s[sgprWorkGroup2] // Stride*WG
s_mul_i32 s60, s[sgprStrideAK], s[sgprWorkGroup2]  // Stride*WG
s_add_u32 s62, s62, s60                            // accum wg term to tilestart
s_addc_u32 s63, s63, s61                           // accum wg term to tilestart
s_lshl_b64 s[62:63], s[62:63], 0x3                 // tileStart *= BPE
s_add_u32 s[sgprSrdA+0], s[sgprSrdA+0], s62        // SRD base = Address+ tileStart0
s_addc_u32 s[sgprSrdA+1], s[sgprSrdA+1], s63       // SRD base = Address+ tileStart1
s_mov_b32 s[sgprSrdA+3], Srd127_96                 // Set bits 127_96 in SRD


/* global read addresses: addresses b */

/* max read offset = size[n] * stride[n-1] */
s_mul_hi_u32 s63, s[sgprWorkGroup1], 128           // WorkGroup[01] * MT
s_mul_i32 s62, s[sgprWorkGroup1], 128              // WorkGroup[01] * MT
s_mul_hi_u32 s63, s62, s[sgprStrideB1J]            // tlu=0, scaled tile-offset by stride
s_mul_i32 s62, s62, s[sgprStrideB1J]               // tlu=0, scaled tile-offset by stride
s_mul_hi_u32 s61, 8, s[sgprGSUSumIdx]              // gsuOffset = DepthU*bpe*GSUSumIdx
s_mul_i32 s60, 8, s[sgprGSUSumIdx]                 // gsuOffset = DepthU*bpe*GSUSumIdx
s_add_u32 s62, s62, s60                            // accum GsuOffset term to tilestart
s_addc_u32 s63, s63, s61                           // accum GsuOffset term to tilestart
s_sub_u32 s[sgprShadowLimitB+0], s[sgprTensor2dSizeB], s62 // sub tileStart
s_subb_u32 s[sgprShadowLimitB+1], s[sgprTensor2dSizeB+1], s63 // sub tileStart
s_lshl_b64 s[sgprShadowLimitB:sgprShadowLimitB+1], s[sgprShadowLimitB:sgprShadowLimitB+1], 0x3 // Set limit to use bytes
s_add_u32 s[sgprShadowLimitB+0], s[sgprShadowLimitB+0], 16 // extend limit for pre-pad
s_addc_u32 s[sgprShadowLimitB+1], s[sgprShadowLimitB+1], 0 // extend limit for pre-pad
s_cmp_eq_u32 s[sgprShadowLimitB+1], 0              // are we within 2^32?
s_cselect_b32 s[sgprSrdB+2], s[sgprShadowLimitB+0], BufferLimitB // Move shadow to real if we are within 2^32
s_mul_hi_u32 s61, s[sgprStrideBK], s[sgprWorkGroup2] // Stride*WG
s_mul_i32 s60, s[sgprStrideBK], s[sgprWorkGroup2]  // Stride*WG
s_add_u32 s62, s62, s60                            // accum wg term to tilestart
s_addc_u32 s63, s63, s61                           // accum wg term to tilestart
s_lshl_b64 s[62:63], s[62:63], 0x3                 // tileStart *= BPE
s_add_u32 s[sgprSrdB+0], s[sgprSrdB+0], s62        // SRD base = Address+ tileStart0
s_addc_u32 s[sgprSrdB+1], s[sgprSrdB+1], s63       // SRD base = Address+ tileStart1
s_mov_b32 s[sgprSrdB+3], Srd127_96                 // Set bits 127_96 in SRD


/* global read addresses: increments a */

s_mov_b32 s[sgprGlobalReadIncsA+0], DepthU*BpeA*16 // incrA (unrollIdx)


/* global read addresses: increments b */

s_mov_b32 s[sgprGlobalReadIncsB+0], DepthU*BpeB*16 // incrB (unrollIdx)

/* declare loop num iterations */


s_lshr_b32 s[sgprLoopCounterL], s[sgprSizesSum+0], 3 // s[sgprLoopCounterL] = s[sgprSizesSum+0] / 8
s_mov_b32 s62, s[sgprLoopCounterL]                 // copy for divide IterGsu
s_lshr_b32 s[sgprLoopCounterL], s62, 4             // s[sgprLoopCounterL] = s62 / 16
s_and_b32 s[sgprGSUSumIdx+1], 15, s62              // s[sgprGSUSumIdx+1] = s62 % 16
s_add_u32 s60, 1, s[sgprLoopCounterL]              // tmp<-numIterMyWg+
s_cmp_lt_u32 s[sgprGSUSumIdx], s[sgprGSUSumIdx+1]  // gsuSumIdx < numIterPerWgRemainder
s_cmov_b32 s[sgprLoopCounterL], s60                // numIterMyWg++ if needed
s_mov_b32 s[sgprOrigLoopCounter], s[sgprLoopCounterL] // copy loop counter

s_and_b32 s[sgprStaggerUIter], s[sgprOrigStaggerUIter], s[sgprWorkGroup0] // Compute actual stagger start for this tile
s_lshl_b32 s[sgprStaggerUIter], s[sgprStaggerUIter], 2 // shift by StaggerUStride


/* SRDs += (StaggerUIter) * GlobalReadIncsA+0 */
s_mul_hi_u32 s61, s[sgprStaggerUIter], s[sgprGlobalReadIncsA+0] //  stagger byte offset
s_mul_i32 s60, s[sgprStaggerUIter], s[sgprGlobalReadIncsA+0] //  stagger byte offset
s_mul_hi_u32 s[sgprWrapUA+1], s[sgprLoopCounterL], s[sgprGlobalReadIncsA+0] // Number of bytes accessed by the unroll loop
s_mul_i32 s[sgprWrapUA+0], s[sgprLoopCounterL], s[sgprGlobalReadIncsA+0] // Number of bytes accessed by the unroll loop
s_sub_u32 s[sgprWrapUA+0], s[sgprGlobalReadIncsA+0], s[sgprWrapUA+0] // remove one iteration
s_subb_u32 s[sgprWrapUA+1], 0, s[sgprWrapUA+1]     // remove one iteration
s_add_u32 s[sgprSrdA+0], s[sgprSrdA+0], s60        // gra SRD += inc(lower)
s_addc_u32  s[sgprSrdA+1], s[sgprSrdA+1], s61      // gra SRD += inc(upper)
s_sub_u32 s[sgprShadowLimitA+0], s[sgprShadowLimitA+0], s60 // limit -= inc)
s_subb_u32 s[sgprShadowLimitA+1], s[sgprShadowLimitA+1], s61 // limit -= inc)
s_cmp_eq_u32 s[sgprShadowLimitA+1], 0              // are we within 2^32?
s_cselect_b32 s[sgprSrdA+2], s[sgprShadowLimitA+0], BufferLimitA // Move shadow to real if we are within 2^32


/* SRDs += (StaggerUIter) * GlobalReadIncsB+0 */
s_mul_hi_u32 s61, s[sgprStaggerUIter], s[sgprGlobalReadIncsB+0] //  stagger byte offset
s_mul_i32 s60, s[sgprStaggerUIter], s[sgprGlobalReadIncsB+0] //  stagger byte offset
s_mul_hi_u32 s[sgprWrapUB+1], s[sgprLoopCounterL], s[sgprGlobalReadIncsB+0] // Number of bytes accessed by the unroll loop
s_mul_i32 s[sgprWrapUB+0], s[sgprLoopCounterL], s[sgprGlobalReadIncsB+0] // Number of bytes accessed by the unroll loop
s_sub_u32 s[sgprWrapUB+0], s[sgprGlobalReadIncsB+0], s[sgprWrapUB+0] // remove one iteration
s_subb_u32 s[sgprWrapUB+1], 0, s[sgprWrapUB+1]     // remove one iteration
s_add_u32 s[sgprSrdB+0], s[sgprSrdB+0], s60        // gra SRD += inc(lower)
s_addc_u32  s[sgprSrdB+1], s[sgprSrdB+1], s61      // gra SRD += inc(upper)
s_sub_u32 s[sgprShadowLimitB+0], s[sgprShadowLimitB+0], s60 // limit -= inc)
s_subb_u32 s[sgprShadowLimitB+1], s[sgprShadowLimitB+1], s61 // limit -= inc)
s_cmp_eq_u32 s[sgprShadowLimitB+1], 0              // are we within 2^32?
s_cselect_b32 s[sgprSrdB+2], s[sgprShadowLimitB+0], BufferLimitB // Move shadow to real if we are within 2^32
s_add_u32 s[sgprStaggerUIter], s[sgprStaggerUIter], 2 // Subtract (PGR-1); StaggerUIter now contains target iteration to wrap

/* local read addresses: init pointers a */


/* localReadInitPointers */

/* local read addresses: init pointers b */


/* localReadInitPointers */


/* prefetch: global -> local */

s_cmp_eq_u32 s[sgprLoopCounterL], 0                // at last iteration?
s_cbranch_scc1 ShadowInitStart_10                  // skip to ShadowInitStart iter b/c numIter==0


_buffer_load_b128 v[vgprG2LA+0:vgprG2LA+0+3], v[vgprGlobalReadOffsetA+0], s[sgprSrdA:sgprSrdA+3], 0, offen offset:0 // G -> Reg 0_0_0_0


_buffer_load_b128 v[vgprG2LB+0:vgprG2LB+0+3], v[vgprGlobalReadOffsetB+0], s[sgprSrdB:sgprSrdB+3], 0, offen offset:0 // G -> Reg 0_0_0_0


/* global read inc A loopL */
s_add_u32 s62, s[sgprLoopCounterL], 1              // remove pf(1)
s_cmp_eq_u32 s[sgprStaggerUIter], s62              // Is this wrapIter? (pf)
s_cselect_b32 s60, s[sgprWrapUA+0], s[sgprGlobalReadIncsA+0] // incLower <- ?
s_cselect_b32 s61, s[sgprWrapUA+1], 0              // incUpper <- ?
s_add_u32 s[sgprSrdA+0], s[sgprSrdA+0], s60        // gra SRD += inc(lower)
s_addc_u32  s[sgprSrdA+1], s[sgprSrdA+1], s61      // gra SRD += inc(upper)
s_sub_u32 s[sgprShadowLimitA+0], s[sgprShadowLimitA+0], s60 // limit -= inc)
s_subb_u32 s[sgprShadowLimitA+1], s[sgprShadowLimitA+1], s61 // limit -= inc)
s_cmp_eq_u32 s[sgprShadowLimitA+1], 0              // are we within 2^32?
s_cselect_b32 s[sgprSrdA+2], s[sgprShadowLimitA+0], BufferLimitA // Move shadow to real if we are within 2^32

/* global read inc B loopL */
s_add_u32 s62, s[sgprLoopCounterL], 1              // remove pf(1)
s_cmp_eq_u32 s[sgprStaggerUIter], s62              // Is this wrapIter? (pf)
s_cselect_b32 s60, s[sgprWrapUB+0], s[sgprGlobalReadIncsB+0] // incLower <- ?
s_cselect_b32 s61, s[sgprWrapUB+1], 0              // incUpper <- ?
s_add_u32 s[sgprSrdB+0], s[sgprSrdB+0], s60        // gra SRD += inc(lower)
s_addc_u32  s[sgprSrdB+1], s[sgprSrdB+1], s61      // gra SRD += inc(upper)
s_sub_u32 s[sgprShadowLimitB+0], s[sgprShadowLimitB+0], s60 // limit -= inc)
s_subb_u32 s[sgprShadowLimitB+1], s[sgprShadowLimitB+1], s61 // limit -= inc)
s_cmp_eq_u32 s[sgprShadowLimitB+1], 0              // are we within 2^32?
s_cselect_b32 s[sgprSrdB+2], s[sgprShadowLimitB+0], BufferLimitB // Move shadow to real if we are within 2^32


/******************************************/
/* End setupNewTile, isPap=False             */
/******************************************/

ShadowInitStart_10: // 

s_mov_b32 s[sgprSrdD+2], BufferOOB                 // 
s_mov_b32 s[sgprSrdD+3], Srd127_96                 // Set bits 127_96 in post-loop SRD

s_mov_b32 s[sgprSrdC+2], BufferOOB                 // 
s_mov_b32 s[sgprSrdC+3], Srd127_96                 // Set bits 127_96 in post-loop SRD


s_mul_i32 s62, MT1, s[sgprWorkGroup1]              // <- wg1*MT1
s_mul_hi_u32 s61, s62, s[sgprStrideC1J]            // CScale s62 by Stride
s_mul_i32 s60, s62, s[sgprStrideC1J]               // CScale s62 by Stride
s_lshl_b64 s[60:61], s[60:61], 3                   // scale by bpe
s_add_u32 s[sgprSrdC+0], s[sgprSrdC+0], s60        // add lo to SRD
s_addc_u32 s[sgprSrdC+1], s[sgprSrdC+1], s61       // add hi to SRD
s_mul_hi_u32 s61, s62, s[sgprStrideD1J]            // Scale s62 by Stride
s_mul_i32 s60, s62, s[sgprStrideD1J]               // Scale s62 by Stride
s_lshl_b64 s[60:61], s[60:61], 3                   // scale by bpe
s_add_u32 s[sgprSrdD+0], s[sgprSrdD+0], s60        // add lo to SRD
s_addc_u32 s[sgprSrdD+1], s[sgprSrdD+1], s61       // add hi to SRD

s_mul_hi_u32 s61, s[sgprWorkGroup2], s[sgprStrideCK] // CScale s[sgprWorkGroup2] by Stride
s_mul_i32 s60, s[sgprWorkGroup2], s[sgprStrideCK]  // CScale s[sgprWorkGroup2] by Stride
s_lshl_b64 s[60:61], s[60:61], 3                   // scale by bpe
s_add_u32 s[sgprSrdC+0], s[sgprSrdC+0], s60        // add lo to SRD
s_addc_u32 s[sgprSrdC+1], s[sgprSrdC+1], s61       // add hi to SRD
s_mul_hi_u32 s61, s[sgprWorkGroup2], s[sgprStrideDK] // Scale s[sgprWorkGroup2] by Stride
s_mul_i32 s60, s[sgprWorkGroup2], s[sgprStrideDK]  // Scale s[sgprWorkGroup2] by Stride
s_lshl_b64 s[60:61], s[60:61], 3                   // scale by bpe
s_add_u32 s[sgprSrdD+0], s[sgprSrdD+0], s60        // add lo to SRD
s_addc_u32 s[sgprSrdD+1], s[sgprSrdD+1], s61       // add hi to SRD


	;; [unrolled: 1-line block ×3, first 2 shown]
/* initC: remove C-tile 0-64 from pool */

/* initC: remove AB-tile 64-112 from pool */
v_mov_b32 v[vgprValuC+0], 0x0                      // initC
v_mov_b32 v[vgprValuC+1], 0x0                      // initC
	;; [unrolled: 1-line block ×10, first 2 shown]
v_mov_b32 v[vgprValuC+10], 0x0                     // initC
v_mov_b32 v[vgprValuC+11], 0x0                     // initC
	;; [unrolled: 1-line block ×54, first 2 shown]

s_cmp_eq_u32 s[sgprLoopCounterL], 0                // at last iteration?

/* after InitC, skip to end of prefetch last iter if numIter==0 */
s_cbranch_scc0 label_NoBranch_11                   // Only branch on scc1
s_getpc_B64 s[60:61]                               // addr of next instr
s_add_i32 s62, PrefetchGlobalLastIterEnd_5, 0x4    // target branch offset
s_add_u32 s60, s60, s62                            // add target branch offset
s_addc_u32 s61, s61, 0                             // add high and carry
s_setpc_b64 s[60:61]                               // branch to PrefetchGlobalLastIterEnd_5
label_NoBranch_11:

s_waitcnt vmcnt(0)                                 // lgkmcnt=-1 vmcnt=0 8wait for global read


/* local write a */
_ds_store_b64 v[vgprLocalWriteAddrA], v[vgprG2LA+0:vgprG2LA+0+1] offset:0 // lwoA_0_0_0_0 = (0 + 0*LSCA)*(MT0I+PAD) + (0*LSPA) = 0
_ds_store_b64 v[vgprLocalWriteAddrA], v[vgprG2LA+2:vgprG2LA+2+1] offset:1024 // lwoA_0_1_0_0 = (1 + 0*LSCA)*(MT0I+PAD) + (0*LSPA) = 1024

/* local write b */
_ds_store_b64 v[vgprLocalWriteAddrB], v[vgprG2LB+0:vgprG2LB+0+1] offset:0 // lwoB_0_0_0_0 = (0 + 0*LSCB)*(MT1J+PAD) + (0*LSPB) = 0
_ds_store_b64 v[vgprLocalWriteAddrB], v[vgprG2LB+2:vgprG2LB+2+1] offset:1024 // lwoB_0_1_0_0 = (1 + 0*LSCB)*(MT1J+PAD) + (0*LSPB) = 1024


/* local write swap a */


/* (EPS=1) local write swap internal offset -> 16384 */


/* local write swap b */


/* (EPS=1) local write swap internal offset -> 16384 */


	;; [unrolled: 1-line block ×3, first 2 shown]
s_waitcnt lgkmcnt(0)                               // lgkmcnt=0 vmcnt=-10prefetch wait for local write

s_barrier //


/* local read prefetch a */

_ds_load_b128 v[vgprValuA_X0_I0+0:vgprValuA_X0_I0+0+3], v[vgprLocalReadAddrA] offset:0 // L -> Reg lro=0 swapByteOffset=0 ti=32 vIdx=0 rIdx=0 oIdx=0 buffer=0 iui=0
_ds_load_b128 v[vgprValuA_X0_I0+4:vgprValuA_X0_I0+4+3], v[vgprLocalReadAddrA] offset:512 // L -> Reg lro=0 swapByteOffset=0 ti=32 vIdx=1 rIdx=0 oIdx=0 buffer=0 iui=0


/* local read prefetch b */

_ds_load_b128 v[vgprValuB_X0_I0+0:vgprValuB_X0_I0+0+3], v[vgprLocalReadAddrB] offset:0 // L -> Reg lro=0 swapByteOffset=0 ti=16 vIdx=0 rIdx=0 oIdx=0 buffer=0 iui=0
_ds_load_b128 v[vgprValuB_X0_I0+4:vgprValuB_X0_I0+4+3], v[vgprLocalReadAddrB] offset:256 // L -> Reg lro=0 swapByteOffset=0 ti=16 vIdx=1 rIdx=0 oIdx=0 buffer=0 iui=0
	;; [unrolled: 1-line block ×4, first 2 shown]


/* local read inc a */

/* N/A, lro->128 */
/* self.localReadDoCntA 0 self.localReadDoCntB 0 */


/* local read inc b */

/* N/A, lro->128 */
/* self.localReadDoCntA 0 self.localReadDoCntB 0 */


	;; [unrolled: 1-line block ×3, first 2 shown]
/******************************************/
/* Unrolled Loop(s) - Begin               */
/******************************************/

openLoopL_12:
s_cmp_le_u32 s[sgprLoopCounterL], 0x1              // LoopCounterL < EndCounter
s_cbranch_scc1 LoopEndL_2                          // do not enter LoopL
LoopBeginL_1:


/******************************************/
/* Unrolled Loop 1/2 - Begin              */
/******************************************/

label_0013: // LoopCopy1 


/* Begin Each Unroll: Check VGPR.checkin for INT8 LW */


	;; [unrolled: 1-line block ×3, first 2 shown]
/* iter 0 */


/* local read a */
_ds_load_b128 v[vgprValuA_X1_I0+0:vgprValuA_X1_I0+0+3], v[vgprLocalReadAddrA] offset:1024 // L -> Reg lro=128 swapByteOffset=0 ti=32 vIdx=0 rIdx=0 oIdx=0 buffer=1 iui=0
_ds_load_b128 v[vgprValuA_X1_I0+4:vgprValuA_X1_I0+4+3], v[vgprLocalReadAddrA] offset:1536 // L -> Reg lro=128 swapByteOffset=0 ti=32 vIdx=1 rIdx=0 oIdx=0 buffer=1 iui=0

/* local read b */
_ds_load_b128 v[vgprValuB_X1_I0+0:vgprValuB_X1_I0+0+3], v[vgprLocalReadAddrB] offset:1024 // L -> Reg lro=128 swapByteOffset=0 ti=16 vIdx=0 rIdx=0 oIdx=0 buffer=1 iui=0
_buffer_load_b128 v[vgprG2LA+0:vgprG2LA+0+3], v[vgprGlobalReadOffsetA+0], s[sgprSrdA:sgprSrdA+3], 0, offen offset:0 // G -> Reg 0_0_0_0
_ds_load_b128 v[vgprValuB_X1_I0+4:vgprValuB_X1_I0+4+3], v[vgprLocalReadAddrB] offset:1280 // L -> Reg lro=128 swapByteOffset=0 ti=16 vIdx=1 rIdx=0 oIdx=0 buffer=1 iui=0
_ds_load_b128 v[vgprValuB_X1_I0+8:vgprValuB_X1_I0+8+3], v[vgprLocalReadAddrB] offset:1536 // L -> Reg lro=128 swapByteOffset=0 ti=16 vIdx=2 rIdx=0 oIdx=0 buffer=1 iui=0
	;; [unrolled: 1-line block ×3, first 2 shown]

/* local read increment a */
/* N/A, lro->256 */
/* self.localReadDoCntA 0 self.localReadDoCntB 0 */

/* local read increment b */
/* N/A, lro->256 */
/* self.localReadDoCntA 0 self.localReadDoCntB 0 */
s_waitcnt lgkmcnt(6)                               // lgkmcnt=0 vmcnt=-1wait for prior local read local write old=0, new=6 newLW=0 newLR=0
MAC_4x8_X0

/* iter 1 */


/* local read a */
_ds_load_b128 v[vgprValuA_X0_I0+0:vgprValuA_X0_I0+0+3], v[vgprLocalReadAddrA] offset:2048 // L -> Reg lro=256 swapByteOffset=0 ti=32 vIdx=0 rIdx=0 oIdx=0 buffer=0 iui=0
_ds_load_b128 v[vgprValuA_X0_I0+4:vgprValuA_X0_I0+4+3], v[vgprLocalReadAddrA] offset:2560 // L -> Reg lro=256 swapByteOffset=0 ti=32 vIdx=1 rIdx=0 oIdx=0 buffer=0 iui=0

/* local read b */
_ds_load_b128 v[vgprValuB_X0_I0+0:vgprValuB_X0_I0+0+3], v[vgprLocalReadAddrB] offset:2048 // L -> Reg lro=256 swapByteOffset=0 ti=16 vIdx=0 rIdx=0 oIdx=0 buffer=0 iui=0
_buffer_load_b128 v[vgprG2LB+0:vgprG2LB+0+3], v[vgprGlobalReadOffsetB+0], s[sgprSrdB:sgprSrdB+3], 0, offen offset:0 // G -> Reg 0_0_0_0
_ds_load_b128 v[vgprValuB_X0_I0+4:vgprValuB_X0_I0+4+3], v[vgprLocalReadAddrB] offset:2304 // L -> Reg lro=256 swapByteOffset=0 ti=16 vIdx=1 rIdx=0 oIdx=0 buffer=0 iui=0
_ds_load_b128 v[vgprValuB_X0_I0+8:vgprValuB_X0_I0+8+3], v[vgprLocalReadAddrB] offset:2560 // L -> Reg lro=256 swapByteOffset=0 ti=16 vIdx=2 rIdx=0 oIdx=0 buffer=0 iui=0
	;; [unrolled: 1-line block ×3, first 2 shown]

/* local read increment a */
/* N/A, lro->384 */
/* self.localReadDoCntA 0 self.localReadDoCntB 0 */

/* local read increment b */
/* N/A, lro->384 */
/* self.localReadDoCntA 0 self.localReadDoCntB 0 */
s_waitcnt lgkmcnt(6)                               // lgkmcnt=0 vmcnt=-1wait for prior local read local write old=0, new=6 newLW=0 newLR=0
MAC_4x8_X1

/* iter 2 */


/* local read a */
_ds_load_b128 v[vgprValuA_X1_I0+0:vgprValuA_X1_I0+0+3], v[vgprLocalReadAddrA] offset:3072 // L -> Reg lro=384 swapByteOffset=0 ti=32 vIdx=0 rIdx=0 oIdx=0 buffer=1 iui=0
_ds_load_b128 v[vgprValuA_X1_I0+4:vgprValuA_X1_I0+4+3], v[vgprLocalReadAddrA] offset:3584 // L -> Reg lro=384 swapByteOffset=0 ti=32 vIdx=1 rIdx=0 oIdx=0 buffer=1 iui=0

/* local read b */
_ds_load_b128 v[vgprValuB_X1_I0+0:vgprValuB_X1_I0+0+3], v[vgprLocalReadAddrB] offset:3072 // L -> Reg lro=384 swapByteOffset=0 ti=16 vIdx=0 rIdx=0 oIdx=0 buffer=1 iui=0

/* global read inc A loopL */
s_cmp_eq_u32 s[sgprLoopCounterL], s[sgprStaggerUIter] // Is this the wrapIter?
s_cselect_b32 s60, s[sgprWrapUA+0], s[sgprGlobalReadIncsA+0] // incLower <- ?
s_cselect_b32 s61, s[sgprWrapUA+1], 0              // incUpper <- ?
s_add_u32 s[sgprSrdA+0], s[sgprSrdA+0], s60        // gra SRD += inc(lower)
s_addc_u32  s[sgprSrdA+1], s[sgprSrdA+1], s61      // gra SRD += inc(upper)
s_sub_u32 s[sgprShadowLimitA+0], s[sgprShadowLimitA+0], s60 // limit -= inc)
s_subb_u32 s[sgprShadowLimitA+1], s[sgprShadowLimitA+1], s61 // limit -= inc)
s_cmp_eq_u32 s[sgprShadowLimitA+1], 0              // are we within 2^32?
s_cselect_b32 s[sgprSrdA+2], s[sgprShadowLimitA+0], BufferLimitA // Move shadow to real if we are within 2^32
_ds_load_b128 v[vgprValuB_X1_I0+4:vgprValuB_X1_I0+4+3], v[vgprLocalReadAddrB] offset:3328 // L -> Reg lro=384 swapByteOffset=0 ti=16 vIdx=1 rIdx=0 oIdx=0 buffer=1 iui=0
_ds_load_b128 v[vgprValuB_X1_I0+8:vgprValuB_X1_I0+8+3], v[vgprLocalReadAddrB] offset:3584 // L -> Reg lro=384 swapByteOffset=0 ti=16 vIdx=2 rIdx=0 oIdx=0 buffer=1 iui=0
_ds_load_b128 v[vgprValuB_X1_I0+12:vgprValuB_X1_I0+12+3], v[vgprLocalReadAddrB] offset:3840 // L -> Reg lro=384 swapByteOffset=0 ti=16 vIdx=3 rIdx=0 oIdx=0 buffer=1 iui=0

/* local read increment a */
/* N/A, lro->512 */
/* self.localReadDoCntA 0 self.localReadDoCntB 0 */

/* local read increment b */
/* N/A, lro->512 */
/* self.localReadDoCntA 0 self.localReadDoCntB 0 */
s_waitcnt lgkmcnt(6)                               // lgkmcnt=0 vmcnt=-1wait for prior local read local write old=0, new=6 newLW=0 newLR=0
MAC_4x8_X0

/* iter 3 */


/* local read a */
_ds_load_b128 v[vgprValuA_X0_I0+0:vgprValuA_X0_I0+0+3], v[vgprLocalReadAddrA] offset:4096 // L -> Reg lro=512 swapByteOffset=0 ti=32 vIdx=0 rIdx=0 oIdx=0 buffer=0 iui=0
_ds_load_b128 v[vgprValuA_X0_I0+4:vgprValuA_X0_I0+4+3], v[vgprLocalReadAddrA] offset:4608 // L -> Reg lro=512 swapByteOffset=0 ti=32 vIdx=1 rIdx=0 oIdx=0 buffer=0 iui=0

/* local read b */
_ds_load_b128 v[vgprValuB_X0_I0+0:vgprValuB_X0_I0+0+3], v[vgprLocalReadAddrB] offset:4096 // L -> Reg lro=512 swapByteOffset=0 ti=16 vIdx=0 rIdx=0 oIdx=0 buffer=0 iui=0

/* global read inc B loopL */
s_cmp_eq_u32 s[sgprLoopCounterL], s[sgprStaggerUIter] // Is this the wrapIter?
s_cselect_b32 s60, s[sgprWrapUB+0], s[sgprGlobalReadIncsB+0] // incLower <- ?
s_cselect_b32 s61, s[sgprWrapUB+1], 0              // incUpper <- ?
s_add_u32 s[sgprSrdB+0], s[sgprSrdB+0], s60        // gra SRD += inc(lower)
s_addc_u32  s[sgprSrdB+1], s[sgprSrdB+1], s61      // gra SRD += inc(upper)
s_sub_u32 s[sgprShadowLimitB+0], s[sgprShadowLimitB+0], s60 // limit -= inc)
s_subb_u32 s[sgprShadowLimitB+1], s[sgprShadowLimitB+1], s61 // limit -= inc)
s_cmp_eq_u32 s[sgprShadowLimitB+1], 0              // are we within 2^32?
s_cselect_b32 s[sgprSrdB+2], s[sgprShadowLimitB+0], BufferLimitB // Move shadow to real if we are within 2^32
_ds_load_b128 v[vgprValuB_X0_I0+4:vgprValuB_X0_I0+4+3], v[vgprLocalReadAddrB] offset:4352 // L -> Reg lro=512 swapByteOffset=0 ti=16 vIdx=1 rIdx=0 oIdx=0 buffer=0 iui=0
_ds_load_b128 v[vgprValuB_X0_I0+8:vgprValuB_X0_I0+8+3], v[vgprLocalReadAddrB] offset:4608 // L -> Reg lro=512 swapByteOffset=0 ti=16 vIdx=2 rIdx=0 oIdx=0 buffer=0 iui=0
	;; [unrolled: 1-line block ×3, first 2 shown]

/* local read increment a */
/* N/A, lro->640 */
/* self.localReadDoCntA 0 self.localReadDoCntB 0 */

/* local read increment b */
/* N/A, lro->640 */
/* self.localReadDoCntA 0 self.localReadDoCntB 0 */
s_waitcnt lgkmcnt(6)                               // lgkmcnt=0 vmcnt=-1wait for prior local read local write old=0, new=6 newLW=0 newLR=0
MAC_4x8_X1

/* iter 4 */


/* local read a */
_ds_load_b128 v[vgprValuA_X1_I0+0:vgprValuA_X1_I0+0+3], v[vgprLocalReadAddrA] offset:5120 // L -> Reg lro=640 swapByteOffset=0 ti=32 vIdx=0 rIdx=0 oIdx=0 buffer=1 iui=0
_ds_load_b128 v[vgprValuA_X1_I0+4:vgprValuA_X1_I0+4+3], v[vgprLocalReadAddrA] offset:5632 // L -> Reg lro=640 swapByteOffset=0 ti=32 vIdx=1 rIdx=0 oIdx=0 buffer=1 iui=0

/* local read b */
_ds_load_b128 v[vgprValuB_X1_I0+0:vgprValuB_X1_I0+0+3], v[vgprLocalReadAddrB] offset:5120 // L -> Reg lro=640 swapByteOffset=0 ti=16 vIdx=0 rIdx=0 oIdx=0 buffer=1 iui=0
_ds_load_b128 v[vgprValuB_X1_I0+4:vgprValuB_X1_I0+4+3], v[vgprLocalReadAddrB] offset:5376 // L -> Reg lro=640 swapByteOffset=0 ti=16 vIdx=1 rIdx=0 oIdx=0 buffer=1 iui=0
_ds_load_b128 v[vgprValuB_X1_I0+8:vgprValuB_X1_I0+8+3], v[vgprLocalReadAddrB] offset:5632 // L -> Reg lro=640 swapByteOffset=0 ti=16 vIdx=2 rIdx=0 oIdx=0 buffer=1 iui=0
_ds_load_b128 v[vgprValuB_X1_I0+12:vgprValuB_X1_I0+12+3], v[vgprLocalReadAddrB] offset:5888 // L -> Reg lro=640 swapByteOffset=0 ti=16 vIdx=3 rIdx=0 oIdx=0 buffer=1 iui=0

/* local read increment a */
/* N/A, lro->768 */
/* self.localReadDoCntA 0 self.localReadDoCntB 0 */

/* local read increment b */
/* N/A, lro->768 */
/* self.localReadDoCntA 0 self.localReadDoCntB 0 */
s_waitcnt lgkmcnt(6)                               // lgkmcnt=0 vmcnt=-1wait for prior local read local write old=0, new=6 newLW=0 newLR=0
MAC_4x8_X0

/* iter 5 */


/* local read a */
_ds_load_b128 v[vgprValuA_X0_I0+0:vgprValuA_X0_I0+0+3], v[vgprLocalReadAddrA] offset:6144 // L -> Reg lro=768 swapByteOffset=0 ti=32 vIdx=0 rIdx=0 oIdx=0 buffer=0 iui=0
_ds_load_b128 v[vgprValuA_X0_I0+4:vgprValuA_X0_I0+4+3], v[vgprLocalReadAddrA] offset:6656 // L -> Reg lro=768 swapByteOffset=0 ti=32 vIdx=1 rIdx=0 oIdx=0 buffer=0 iui=0

/* local read b */
_ds_load_b128 v[vgprValuB_X0_I0+0:vgprValuB_X0_I0+0+3], v[vgprLocalReadAddrB] offset:6144 // L -> Reg lro=768 swapByteOffset=0 ti=16 vIdx=0 rIdx=0 oIdx=0 buffer=0 iui=0
_ds_load_b128 v[vgprValuB_X0_I0+4:vgprValuB_X0_I0+4+3], v[vgprLocalReadAddrB] offset:6400 // L -> Reg lro=768 swapByteOffset=0 ti=16 vIdx=1 rIdx=0 oIdx=0 buffer=0 iui=0
	;; [unrolled: 1-line block ×4, first 2 shown]

/* local read increment a */
/* N/A, lro->896 */
/* self.localReadDoCntA 0 self.localReadDoCntB 0 */

/* local read increment b */
/* N/A, lro->896 */
/* self.localReadDoCntA 0 self.localReadDoCntB 0 */
/* sched write - iter 5 writesPerItem=2 */
s_waitcnt vmcnt(0)                                 // lgkmcnt=-1 vmcnt=0wait for global read before writing to local
_ds_store_b64 v[vgprLocalWriteAddrA], v[vgprG2LA+0:vgprG2LA+0+1] offset:16384 // lwoA_0_0_0_0 = (0 + 0*LSCA)*(MT0I+PAD) + (0*LSPA) = 16384
_ds_store_b64 v[vgprLocalWriteAddrA], v[vgprG2LA+2:vgprG2LA+2+1] offset:17408 // lwoA_0_1_0_0 = (1 + 0*LSCA)*(MT0I+PAD) + (0*LSPA) = 17408
s_waitcnt lgkmcnt(8)                               // lgkmcnt=0 vmcnt=-1wait for prior local read local write old=0, new=8 newLW=0 newLR=0
MAC_4x8_X1

/* iter 6 (reset local read pointers iteration)  (swap and reset local write pointers iteration)  (swap local read pointers iteration)  */


/* local read a */
_ds_load_b128 v[vgprValuA_X1_I0+0:vgprValuA_X1_I0+0+3], v[vgprLocalReadAddrA] offset:7168 // L -> Reg lro=896 swapByteOffset=0 ti=32 vIdx=0 rIdx=0 oIdx=0 buffer=1 iui=0
_ds_load_b128 v[vgprValuA_X1_I0+4:vgprValuA_X1_I0+4+3], v[vgprLocalReadAddrA] offset:7680 // L -> Reg lro=896 swapByteOffset=0 ti=32 vIdx=1 rIdx=0 oIdx=0 buffer=1 iui=0

/* local read b */
_ds_load_b128 v[vgprValuB_X1_I0+0:vgprValuB_X1_I0+0+3], v[vgprLocalReadAddrB] offset:7168 // L -> Reg lro=896 swapByteOffset=0 ti=16 vIdx=0 rIdx=0 oIdx=0 buffer=1 iui=0
_ds_load_b128 v[vgprValuB_X1_I0+4:vgprValuB_X1_I0+4+3], v[vgprLocalReadAddrB] offset:7424 // L -> Reg lro=896 swapByteOffset=0 ti=16 vIdx=1 rIdx=0 oIdx=0 buffer=1 iui=0
_ds_load_b128 v[vgprValuB_X1_I0+8:vgprValuB_X1_I0+8+3], v[vgprLocalReadAddrB] offset:7680 // L -> Reg lro=896 swapByteOffset=0 ti=16 vIdx=2 rIdx=0 oIdx=0 buffer=1 iui=0
_ds_load_b128 v[vgprValuB_X1_I0+12:vgprValuB_X1_I0+12+3], v[vgprLocalReadAddrB] offset:7936 // L -> Reg lro=896 swapByteOffset=0 ti=16 vIdx=3 rIdx=0 oIdx=0 buffer=1 iui=0
/* sched write - iter 6 writesPerItem=2 */
s_waitcnt vmcnt(0)                                 // lgkmcnt=-1 vmcnt=0wait for global read before writing to local
_ds_store_b64 v[vgprLocalWriteAddrB], v[vgprG2LB+0:vgprG2LB+0+1] offset:16384 // lwoB_0_0_0_0 = (0 + 0*LSCB)*(MT1J+PAD) + (0*LSPB) = 16384
_ds_store_b64 v[vgprLocalWriteAddrB], v[vgprG2LB+2:vgprG2LB+2+1] offset:17408 // lwoB_0_1_0_0 = (1 + 0*LSCB)*(MT1J+PAD) + (0*LSPB) = 17408

/* local write swap offsets a */

/* (EPS=1) local write swap internal offset -> 0 */

/* local write swap offsets b */

/* (EPS=1) local write swap internal offset -> 0 */

/* local read swap offsets a */

/* local read swap internal offset -> 16384 */

/* local read swap offsets b */

/* local read swap internal offset -> 16384 */

/* local read init pointers a */

/* localReadInitPointers */

/* local read init pointers b */

/* localReadInitPointers */
s_waitcnt lgkmcnt(8)                               // lgkmcnt=0 vmcnt=-1wait for prior local read local write old=0, new=8 newLW=0 newLR=0
MAC_4x8_X0

/* iter 7 */

s_waitcnt lgkmcnt(0)                               // lgkmcnt=0 vmcnt=-13wait for local write
s_barrier //

/* local read a */
_ds_load_b128 v[vgprValuA_X0_I0+0:vgprValuA_X0_I0+0+3], v[vgprLocalReadAddrA] offset:16384 // L -> Reg lro=0 swapByteOffset=16384 ti=32 vIdx=0 rIdx=0 oIdx=0 buffer=0 iui=0
_ds_load_b128 v[vgprValuA_X0_I0+4:vgprValuA_X0_I0+4+3], v[vgprLocalReadAddrA] offset:16896 // L -> Reg lro=0 swapByteOffset=16384 ti=32 vIdx=1 rIdx=0 oIdx=0 buffer=0 iui=0

/* local read b */
_ds_load_b128 v[vgprValuB_X0_I0+0:vgprValuB_X0_I0+0+3], v[vgprLocalReadAddrB] offset:16384 // L -> Reg lro=0 swapByteOffset=16384 ti=16 vIdx=0 rIdx=0 oIdx=0 buffer=0 iui=0
_ds_load_b128 v[vgprValuB_X0_I0+4:vgprValuB_X0_I0+4+3], v[vgprLocalReadAddrB] offset:16640 // L -> Reg lro=0 swapByteOffset=16384 ti=16 vIdx=1 rIdx=0 oIdx=0 buffer=0 iui=0
_ds_load_b128 v[vgprValuB_X0_I0+8:vgprValuB_X0_I0+8+3], v[vgprLocalReadAddrB] offset:16896 // L -> Reg lro=0 swapByteOffset=16384 ti=16 vIdx=2 rIdx=0 oIdx=0 buffer=0 iui=0
_ds_load_b128 v[vgprValuB_X0_I0+12:vgprValuB_X0_I0+12+3], v[vgprLocalReadAddrB] offset:17152 // L -> Reg lro=0 swapByteOffset=16384 ti=16 vIdx=3 rIdx=0 oIdx=0 buffer=0 iui=0

/* local read increment a */
/* N/A, lro->128 */
/* self.localReadDoCntA 0 self.localReadDoCntB 0 */

/* local read increment b */
/* N/A, lro->128 */
/* self.localReadDoCntA 0 self.localReadDoCntB 0 */
s_waitcnt lgkmcnt(6)                               // lgkmcnt=0 vmcnt=-1wait for prior local read local write old=0, new=6 newLW=0 newLR=0
MAC_4x8_X1

/******************************************/
/* Unrolled Loop - End 1/2                */
/******************************************/


/* closeLoop loopL finalLoop=0 tailLoop=0 */
s_sub_u32 s[sgprLoopCounterL], s[sgprLoopCounterL], 1 // dec counterL
s_cmp_eq_i32 s[sgprLoopCounterL], 0x1              // counterL==1
s_cbranch_scc1 LoopEndL_oddexit_3                  // exit LoopL


/******************************************/
/* Unrolled Loop 2/2 - Begin              */
/******************************************/

label_0014: // LoopCopy2 


/* Begin Each Unroll: Check VGPR.checkin for INT8 LW */


	;; [unrolled: 1-line block ×3, first 2 shown]
/* iter 0 */


/* local read a */
_ds_load_b128 v[vgprValuA_X1_I0+0:vgprValuA_X1_I0+0+3], v[vgprLocalReadAddrA] offset:17408 // L -> Reg lro=128 swapByteOffset=16384 ti=32 vIdx=0 rIdx=0 oIdx=0 buffer=1 iui=0
_ds_load_b128 v[vgprValuA_X1_I0+4:vgprValuA_X1_I0+4+3], v[vgprLocalReadAddrA] offset:17920 // L -> Reg lro=128 swapByteOffset=16384 ti=32 vIdx=1 rIdx=0 oIdx=0 buffer=1 iui=0

/* local read b */
_ds_load_b128 v[vgprValuB_X1_I0+0:vgprValuB_X1_I0+0+3], v[vgprLocalReadAddrB] offset:17408 // L -> Reg lro=128 swapByteOffset=16384 ti=16 vIdx=0 rIdx=0 oIdx=0 buffer=1 iui=0
_buffer_load_b128 v[vgprG2LA+0:vgprG2LA+0+3], v[vgprGlobalReadOffsetA+0], s[sgprSrdA:sgprSrdA+3], 0, offen offset:0 // G -> Reg 0_0_0_0
_ds_load_b128 v[vgprValuB_X1_I0+4:vgprValuB_X1_I0+4+3], v[vgprLocalReadAddrB] offset:17664 // L -> Reg lro=128 swapByteOffset=16384 ti=16 vIdx=1 rIdx=0 oIdx=0 buffer=1 iui=0
_ds_load_b128 v[vgprValuB_X1_I0+8:vgprValuB_X1_I0+8+3], v[vgprLocalReadAddrB] offset:17920 // L -> Reg lro=128 swapByteOffset=16384 ti=16 vIdx=2 rIdx=0 oIdx=0 buffer=1 iui=0
_ds_load_b128 v[vgprValuB_X1_I0+12:vgprValuB_X1_I0+12+3], v[vgprLocalReadAddrB] offset:18176 // L -> Reg lro=128 swapByteOffset=16384 ti=16 vIdx=3 rIdx=0 oIdx=0 buffer=1 iui=0

/* local read increment a */
/* N/A, lro->256 */
/* self.localReadDoCntA 0 self.localReadDoCntB 0 */

/* local read increment b */
/* N/A, lro->256 */
/* self.localReadDoCntA 0 self.localReadDoCntB 0 */
s_waitcnt lgkmcnt(6)                               // lgkmcnt=0 vmcnt=-1wait for prior local read local write old=0, new=6 newLW=0 newLR=0
MAC_4x8_X0

/* iter 1 */


/* local read a */
_ds_load_b128 v[vgprValuA_X0_I0+0:vgprValuA_X0_I0+0+3], v[vgprLocalReadAddrA] offset:18432 // L -> Reg lro=256 swapByteOffset=16384 ti=32 vIdx=0 rIdx=0 oIdx=0 buffer=0 iui=0
_ds_load_b128 v[vgprValuA_X0_I0+4:vgprValuA_X0_I0+4+3], v[vgprLocalReadAddrA] offset:18944 // L -> Reg lro=256 swapByteOffset=16384 ti=32 vIdx=1 rIdx=0 oIdx=0 buffer=0 iui=0

/* local read b */
_ds_load_b128 v[vgprValuB_X0_I0+0:vgprValuB_X0_I0+0+3], v[vgprLocalReadAddrB] offset:18432 // L -> Reg lro=256 swapByteOffset=16384 ti=16 vIdx=0 rIdx=0 oIdx=0 buffer=0 iui=0
_buffer_load_b128 v[vgprG2LB+0:vgprG2LB+0+3], v[vgprGlobalReadOffsetB+0], s[sgprSrdB:sgprSrdB+3], 0, offen offset:0 // G -> Reg 0_0_0_0
_ds_load_b128 v[vgprValuB_X0_I0+4:vgprValuB_X0_I0+4+3], v[vgprLocalReadAddrB] offset:18688 // L -> Reg lro=256 swapByteOffset=16384 ti=16 vIdx=1 rIdx=0 oIdx=0 buffer=0 iui=0
_ds_load_b128 v[vgprValuB_X0_I0+8:vgprValuB_X0_I0+8+3], v[vgprLocalReadAddrB] offset:18944 // L -> Reg lro=256 swapByteOffset=16384 ti=16 vIdx=2 rIdx=0 oIdx=0 buffer=0 iui=0
	;; [unrolled: 1-line block ×3, first 2 shown]

/* local read increment a */
/* N/A, lro->384 */
/* self.localReadDoCntA 0 self.localReadDoCntB 0 */

/* local read increment b */
/* N/A, lro->384 */
/* self.localReadDoCntA 0 self.localReadDoCntB 0 */
s_waitcnt lgkmcnt(6)                               // lgkmcnt=0 vmcnt=-1wait for prior local read local write old=0, new=6 newLW=0 newLR=0
MAC_4x8_X1

/* iter 2 */


/* local read a */
_ds_load_b128 v[vgprValuA_X1_I0+0:vgprValuA_X1_I0+0+3], v[vgprLocalReadAddrA] offset:19456 // L -> Reg lro=384 swapByteOffset=16384 ti=32 vIdx=0 rIdx=0 oIdx=0 buffer=1 iui=0
_ds_load_b128 v[vgprValuA_X1_I0+4:vgprValuA_X1_I0+4+3], v[vgprLocalReadAddrA] offset:19968 // L -> Reg lro=384 swapByteOffset=16384 ti=32 vIdx=1 rIdx=0 oIdx=0 buffer=1 iui=0

/* local read b */
_ds_load_b128 v[vgprValuB_X1_I0+0:vgprValuB_X1_I0+0+3], v[vgprLocalReadAddrB] offset:19456 // L -> Reg lro=384 swapByteOffset=16384 ti=16 vIdx=0 rIdx=0 oIdx=0 buffer=1 iui=0

/* global read inc A loopL */
s_cmp_eq_u32 s[sgprLoopCounterL], s[sgprStaggerUIter] // Is this the wrapIter?
s_cselect_b32 s60, s[sgprWrapUA+0], s[sgprGlobalReadIncsA+0] // incLower <- ?
s_cselect_b32 s61, s[sgprWrapUA+1], 0              // incUpper <- ?
s_add_u32 s[sgprSrdA+0], s[sgprSrdA+0], s60        // gra SRD += inc(lower)
s_addc_u32  s[sgprSrdA+1], s[sgprSrdA+1], s61      // gra SRD += inc(upper)
s_sub_u32 s[sgprShadowLimitA+0], s[sgprShadowLimitA+0], s60 // limit -= inc)
s_subb_u32 s[sgprShadowLimitA+1], s[sgprShadowLimitA+1], s61 // limit -= inc)
s_cmp_eq_u32 s[sgprShadowLimitA+1], 0              // are we within 2^32?
s_cselect_b32 s[sgprSrdA+2], s[sgprShadowLimitA+0], BufferLimitA // Move shadow to real if we are within 2^32
_ds_load_b128 v[vgprValuB_X1_I0+4:vgprValuB_X1_I0+4+3], v[vgprLocalReadAddrB] offset:19712 // L -> Reg lro=384 swapByteOffset=16384 ti=16 vIdx=1 rIdx=0 oIdx=0 buffer=1 iui=0
_ds_load_b128 v[vgprValuB_X1_I0+8:vgprValuB_X1_I0+8+3], v[vgprLocalReadAddrB] offset:19968 // L -> Reg lro=384 swapByteOffset=16384 ti=16 vIdx=2 rIdx=0 oIdx=0 buffer=1 iui=0
	;; [unrolled: 1-line block ×3, first 2 shown]

/* local read increment a */
/* N/A, lro->512 */
/* self.localReadDoCntA 0 self.localReadDoCntB 0 */

/* local read increment b */
/* N/A, lro->512 */
/* self.localReadDoCntA 0 self.localReadDoCntB 0 */
s_waitcnt lgkmcnt(6)                               // lgkmcnt=0 vmcnt=-1wait for prior local read local write old=0, new=6 newLW=0 newLR=0
MAC_4x8_X0

/* iter 3 */


/* local read a */
_ds_load_b128 v[vgprValuA_X0_I0+0:vgprValuA_X0_I0+0+3], v[vgprLocalReadAddrA] offset:20480 // L -> Reg lro=512 swapByteOffset=16384 ti=32 vIdx=0 rIdx=0 oIdx=0 buffer=0 iui=0
_ds_load_b128 v[vgprValuA_X0_I0+4:vgprValuA_X0_I0+4+3], v[vgprLocalReadAddrA] offset:20992 // L -> Reg lro=512 swapByteOffset=16384 ti=32 vIdx=1 rIdx=0 oIdx=0 buffer=0 iui=0

/* local read b */
_ds_load_b128 v[vgprValuB_X0_I0+0:vgprValuB_X0_I0+0+3], v[vgprLocalReadAddrB] offset:20480 // L -> Reg lro=512 swapByteOffset=16384 ti=16 vIdx=0 rIdx=0 oIdx=0 buffer=0 iui=0

/* global read inc B loopL */
s_cmp_eq_u32 s[sgprLoopCounterL], s[sgprStaggerUIter] // Is this the wrapIter?
s_cselect_b32 s60, s[sgprWrapUB+0], s[sgprGlobalReadIncsB+0] // incLower <- ?
s_cselect_b32 s61, s[sgprWrapUB+1], 0              // incUpper <- ?
s_add_u32 s[sgprSrdB+0], s[sgprSrdB+0], s60        // gra SRD += inc(lower)
s_addc_u32  s[sgprSrdB+1], s[sgprSrdB+1], s61      // gra SRD += inc(upper)
s_sub_u32 s[sgprShadowLimitB+0], s[sgprShadowLimitB+0], s60 // limit -= inc)
s_subb_u32 s[sgprShadowLimitB+1], s[sgprShadowLimitB+1], s61 // limit -= inc)
s_cmp_eq_u32 s[sgprShadowLimitB+1], 0              // are we within 2^32?
s_cselect_b32 s[sgprSrdB+2], s[sgprShadowLimitB+0], BufferLimitB // Move shadow to real if we are within 2^32
_ds_load_b128 v[vgprValuB_X0_I0+4:vgprValuB_X0_I0+4+3], v[vgprLocalReadAddrB] offset:20736 // L -> Reg lro=512 swapByteOffset=16384 ti=16 vIdx=1 rIdx=0 oIdx=0 buffer=0 iui=0
_ds_load_b128 v[vgprValuB_X0_I0+8:vgprValuB_X0_I0+8+3], v[vgprLocalReadAddrB] offset:20992 // L -> Reg lro=512 swapByteOffset=16384 ti=16 vIdx=2 rIdx=0 oIdx=0 buffer=0 iui=0
	;; [unrolled: 1-line block ×3, first 2 shown]

/* local read increment a */
/* N/A, lro->640 */
/* self.localReadDoCntA 0 self.localReadDoCntB 0 */

/* local read increment b */
/* N/A, lro->640 */
/* self.localReadDoCntA 0 self.localReadDoCntB 0 */
s_waitcnt lgkmcnt(6)                               // lgkmcnt=0 vmcnt=-1wait for prior local read local write old=0, new=6 newLW=0 newLR=0
MAC_4x8_X1

/* iter 4 */


/* local read a */
_ds_load_b128 v[vgprValuA_X1_I0+0:vgprValuA_X1_I0+0+3], v[vgprLocalReadAddrA] offset:21504 // L -> Reg lro=640 swapByteOffset=16384 ti=32 vIdx=0 rIdx=0 oIdx=0 buffer=1 iui=0
_ds_load_b128 v[vgprValuA_X1_I0+4:vgprValuA_X1_I0+4+3], v[vgprLocalReadAddrA] offset:22016 // L -> Reg lro=640 swapByteOffset=16384 ti=32 vIdx=1 rIdx=0 oIdx=0 buffer=1 iui=0

/* local read b */
_ds_load_b128 v[vgprValuB_X1_I0+0:vgprValuB_X1_I0+0+3], v[vgprLocalReadAddrB] offset:21504 // L -> Reg lro=640 swapByteOffset=16384 ti=16 vIdx=0 rIdx=0 oIdx=0 buffer=1 iui=0
_ds_load_b128 v[vgprValuB_X1_I0+4:vgprValuB_X1_I0+4+3], v[vgprLocalReadAddrB] offset:21760 // L -> Reg lro=640 swapByteOffset=16384 ti=16 vIdx=1 rIdx=0 oIdx=0 buffer=1 iui=0
	;; [unrolled: 1-line block ×4, first 2 shown]

/* local read increment a */
/* N/A, lro->768 */
/* self.localReadDoCntA 0 self.localReadDoCntB 0 */

/* local read increment b */
/* N/A, lro->768 */
/* self.localReadDoCntA 0 self.localReadDoCntB 0 */
s_waitcnt lgkmcnt(6)                               // lgkmcnt=0 vmcnt=-1wait for prior local read local write old=0, new=6 newLW=0 newLR=0
MAC_4x8_X0

/* iter 5 */


/* local read a */
_ds_load_b128 v[vgprValuA_X0_I0+0:vgprValuA_X0_I0+0+3], v[vgprLocalReadAddrA] offset:22528 // L -> Reg lro=768 swapByteOffset=16384 ti=32 vIdx=0 rIdx=0 oIdx=0 buffer=0 iui=0
_ds_load_b128 v[vgprValuA_X0_I0+4:vgprValuA_X0_I0+4+3], v[vgprLocalReadAddrA] offset:23040 // L -> Reg lro=768 swapByteOffset=16384 ti=32 vIdx=1 rIdx=0 oIdx=0 buffer=0 iui=0

/* local read b */
_ds_load_b128 v[vgprValuB_X0_I0+0:vgprValuB_X0_I0+0+3], v[vgprLocalReadAddrB] offset:22528 // L -> Reg lro=768 swapByteOffset=16384 ti=16 vIdx=0 rIdx=0 oIdx=0 buffer=0 iui=0
_ds_load_b128 v[vgprValuB_X0_I0+4:vgprValuB_X0_I0+4+3], v[vgprLocalReadAddrB] offset:22784 // L -> Reg lro=768 swapByteOffset=16384 ti=16 vIdx=1 rIdx=0 oIdx=0 buffer=0 iui=0
	;; [unrolled: 1-line block ×4, first 2 shown]

/* local read increment a */
/* N/A, lro->896 */
/* self.localReadDoCntA 0 self.localReadDoCntB 0 */

/* local read increment b */
/* N/A, lro->896 */
/* self.localReadDoCntA 0 self.localReadDoCntB 0 */
/* sched write - iter 5 writesPerItem=2 */
s_waitcnt vmcnt(0)                                 // lgkmcnt=-1 vmcnt=0wait for global read before writing to local
_ds_store_b64 v[vgprLocalWriteAddrA], v[vgprG2LA+0:vgprG2LA+0+1] offset:0 // lwoA_0_0_0_0 = (0 + 0*LSCA)*(MT0I+PAD) + (0*LSPA) = 0
_ds_store_b64 v[vgprLocalWriteAddrA], v[vgprG2LA+2:vgprG2LA+2+1] offset:1024 // lwoA_0_1_0_0 = (1 + 0*LSCA)*(MT0I+PAD) + (0*LSPA) = 1024
s_waitcnt lgkmcnt(8)                               // lgkmcnt=0 vmcnt=-1wait for prior local read local write old=0, new=8 newLW=0 newLR=0
MAC_4x8_X1

/* iter 6 (reset local read pointers iteration)  (swap and reset local write pointers iteration)  (swap local read pointers iteration)  */


/* local read a */
_ds_load_b128 v[vgprValuA_X1_I0+0:vgprValuA_X1_I0+0+3], v[vgprLocalReadAddrA] offset:23552 // L -> Reg lro=896 swapByteOffset=16384 ti=32 vIdx=0 rIdx=0 oIdx=0 buffer=1 iui=0
_ds_load_b128 v[vgprValuA_X1_I0+4:vgprValuA_X1_I0+4+3], v[vgprLocalReadAddrA] offset:24064 // L -> Reg lro=896 swapByteOffset=16384 ti=32 vIdx=1 rIdx=0 oIdx=0 buffer=1 iui=0

/* local read b */
_ds_load_b128 v[vgprValuB_X1_I0+0:vgprValuB_X1_I0+0+3], v[vgprLocalReadAddrB] offset:23552 // L -> Reg lro=896 swapByteOffset=16384 ti=16 vIdx=0 rIdx=0 oIdx=0 buffer=1 iui=0
_ds_load_b128 v[vgprValuB_X1_I0+4:vgprValuB_X1_I0+4+3], v[vgprLocalReadAddrB] offset:23808 // L -> Reg lro=896 swapByteOffset=16384 ti=16 vIdx=1 rIdx=0 oIdx=0 buffer=1 iui=0
	;; [unrolled: 1-line block ×4, first 2 shown]
/* sched write - iter 6 writesPerItem=2 */
s_waitcnt vmcnt(0)                                 // lgkmcnt=-1 vmcnt=0wait for global read before writing to local
_ds_store_b64 v[vgprLocalWriteAddrB], v[vgprG2LB+0:vgprG2LB+0+1] offset:0 // lwoB_0_0_0_0 = (0 + 0*LSCB)*(MT1J+PAD) + (0*LSPB) = 0
_ds_store_b64 v[vgprLocalWriteAddrB], v[vgprG2LB+2:vgprG2LB+2+1] offset:1024 // lwoB_0_1_0_0 = (1 + 0*LSCB)*(MT1J+PAD) + (0*LSPB) = 1024

/* local write swap offsets a */

/* (EPS=1) local write swap internal offset -> 16384 */

/* local write swap offsets b */

/* (EPS=1) local write swap internal offset -> 16384 */

/* local read swap offsets a */

/* local read swap internal offset -> 0 */

/* local read swap offsets b */

/* local read swap internal offset -> 0 */

/* local read init pointers a */

/* localReadInitPointers */

/* local read init pointers b */

/* localReadInitPointers */
s_waitcnt lgkmcnt(8)                               // lgkmcnt=0 vmcnt=-1wait for prior local read local write old=0, new=8 newLW=0 newLR=0
MAC_4x8_X0

/* iter 7 */

s_waitcnt lgkmcnt(0)                               // lgkmcnt=0 vmcnt=-13wait for local write
s_barrier //

/* local read a */
_ds_load_b128 v[vgprValuA_X0_I0+0:vgprValuA_X0_I0+0+3], v[vgprLocalReadAddrA] offset:0 // L -> Reg lro=0 swapByteOffset=0 ti=32 vIdx=0 rIdx=0 oIdx=0 buffer=0 iui=0
_ds_load_b128 v[vgprValuA_X0_I0+4:vgprValuA_X0_I0+4+3], v[vgprLocalReadAddrA] offset:512 // L -> Reg lro=0 swapByteOffset=0 ti=32 vIdx=1 rIdx=0 oIdx=0 buffer=0 iui=0

/* local read b */
_ds_load_b128 v[vgprValuB_X0_I0+0:vgprValuB_X0_I0+0+3], v[vgprLocalReadAddrB] offset:0 // L -> Reg lro=0 swapByteOffset=0 ti=16 vIdx=0 rIdx=0 oIdx=0 buffer=0 iui=0
_ds_load_b128 v[vgprValuB_X0_I0+4:vgprValuB_X0_I0+4+3], v[vgprLocalReadAddrB] offset:256 // L -> Reg lro=0 swapByteOffset=0 ti=16 vIdx=1 rIdx=0 oIdx=0 buffer=0 iui=0
	;; [unrolled: 1-line block ×4, first 2 shown]

/* local read increment a */
/* N/A, lro->128 */
/* self.localReadDoCntA 0 self.localReadDoCntB 0 */

/* local read increment b */
/* N/A, lro->128 */
/* self.localReadDoCntA 0 self.localReadDoCntB 0 */
s_waitcnt lgkmcnt(6)                               // lgkmcnt=0 vmcnt=-1wait for prior local read local write old=0, new=6 newLW=0 newLR=0
MAC_4x8_X1

/******************************************/
/* Unrolled Loop - End 2/2 (final)        */
/******************************************/


/* closeLoop loopL finalLoop=1 tailLoop=0 */
s_sub_u32 s[sgprLoopCounterL], s[sgprLoopCounterL], 1 // dec counterL
s_cmp_eq_i32 s[sgprLoopCounterL], 0x1              // counterL==1
s_cbranch_scc0 LoopBeginL_1                        // restart LoopL
LoopEndL_evenexit_4: // unroll loop eveniter exit
s_branch LoopEndL_2                                // exit unroll loopL (and skip second exit code)
LoopEndL_oddexit_3: // unroll loop odditer exit

/* Select high bank of LDS */
v_xor_b32 v[vgprLocalReadAddrA], 0x4000, v[vgprLocalReadAddrA] // swap Red Blk
v_xor_b32 v[vgprLocalReadAddrB], 0x4000, v[vgprLocalReadAddrB] // swap Red Blk
LoopEndL_2:


/* Before NLL: Check VGPR.checkin for INT8 LW */


/******************************************/
/* Ord. NoLoadLoop - Begin                                      */
/******************************************/


	;; [unrolled: 1-line block ×4, first 2 shown]
/* iter 0 (last unrolled loop) */


/* local read a */
_ds_load_b128 v[vgprValuA_X1_I0+0:vgprValuA_X1_I0+0+3], v[vgprLocalReadAddrA] offset:1024 // L -> Reg lro=128 swapByteOffset=0 ti=32 vIdx=0 rIdx=0 oIdx=0 buffer=1 iui=0
_ds_load_b128 v[vgprValuA_X1_I0+4:vgprValuA_X1_I0+4+3], v[vgprLocalReadAddrA] offset:1536 // L -> Reg lro=128 swapByteOffset=0 ti=32 vIdx=1 rIdx=0 oIdx=0 buffer=1 iui=0

/* local read b */
_ds_load_b128 v[vgprValuB_X1_I0+0:vgprValuB_X1_I0+0+3], v[vgprLocalReadAddrB] offset:1024 // L -> Reg lro=128 swapByteOffset=0 ti=16 vIdx=0 rIdx=0 oIdx=0 buffer=1 iui=0
_ds_load_b128 v[vgprValuB_X1_I0+4:vgprValuB_X1_I0+4+3], v[vgprLocalReadAddrB] offset:1280 // L -> Reg lro=128 swapByteOffset=0 ti=16 vIdx=1 rIdx=0 oIdx=0 buffer=1 iui=0
_ds_load_b128 v[vgprValuB_X1_I0+8:vgprValuB_X1_I0+8+3], v[vgprLocalReadAddrB] offset:1536 // L -> Reg lro=128 swapByteOffset=0 ti=16 vIdx=2 rIdx=0 oIdx=0 buffer=1 iui=0
_ds_load_b128 v[vgprValuB_X1_I0+12:vgprValuB_X1_I0+12+3], v[vgprLocalReadAddrB] offset:1792 // L -> Reg lro=128 swapByteOffset=0 ti=16 vIdx=3 rIdx=0 oIdx=0 buffer=1 iui=0

/* local read increment a */
/* N/A, lro->256 */
/* self.localReadDoCntA 0 self.localReadDoCntB 0 */

/* local read increment b */
/* N/A, lro->256 */
/* self.localReadDoCntA 0 self.localReadDoCntB 0 */
s_waitcnt lgkmcnt(6)                               // lgkmcnt=0 vmcnt=-1wait for prior local read local write old=0, new=6 newLW=0 newLR=0
MAC_4x8_X0

/* iter 1 (last unrolled loop) */


/* local read a */
_ds_load_b128 v[vgprValuA_X0_I0+0:vgprValuA_X0_I0+0+3], v[vgprLocalReadAddrA] offset:2048 // L -> Reg lro=256 swapByteOffset=0 ti=32 vIdx=0 rIdx=0 oIdx=0 buffer=0 iui=0
_ds_load_b128 v[vgprValuA_X0_I0+4:vgprValuA_X0_I0+4+3], v[vgprLocalReadAddrA] offset:2560 // L -> Reg lro=256 swapByteOffset=0 ti=32 vIdx=1 rIdx=0 oIdx=0 buffer=0 iui=0

/* local read b */
_ds_load_b128 v[vgprValuB_X0_I0+0:vgprValuB_X0_I0+0+3], v[vgprLocalReadAddrB] offset:2048 // L -> Reg lro=256 swapByteOffset=0 ti=16 vIdx=0 rIdx=0 oIdx=0 buffer=0 iui=0
_ds_load_b128 v[vgprValuB_X0_I0+4:vgprValuB_X0_I0+4+3], v[vgprLocalReadAddrB] offset:2304 // L -> Reg lro=256 swapByteOffset=0 ti=16 vIdx=1 rIdx=0 oIdx=0 buffer=0 iui=0
_ds_load_b128 v[vgprValuB_X0_I0+8:vgprValuB_X0_I0+8+3], v[vgprLocalReadAddrB] offset:2560 // L -> Reg lro=256 swapByteOffset=0 ti=16 vIdx=2 rIdx=0 oIdx=0 buffer=0 iui=0
_ds_load_b128 v[vgprValuB_X0_I0+12:vgprValuB_X0_I0+12+3], v[vgprLocalReadAddrB] offset:2816 // L -> Reg lro=256 swapByteOffset=0 ti=16 vIdx=3 rIdx=0 oIdx=0 buffer=0 iui=0

/* local read increment a */
/* N/A, lro->384 */
/* self.localReadDoCntA 0 self.localReadDoCntB 0 */

/* local read increment b */
/* N/A, lro->384 */
/* self.localReadDoCntA 0 self.localReadDoCntB 0 */
s_waitcnt lgkmcnt(6)                               // lgkmcnt=0 vmcnt=-1wait for prior local read local write old=0, new=6 newLW=0 newLR=0
MAC_4x8_X1

/* iter 2 (last unrolled loop) */


/* local read a */
_ds_load_b128 v[vgprValuA_X1_I0+0:vgprValuA_X1_I0+0+3], v[vgprLocalReadAddrA] offset:3072 // L -> Reg lro=384 swapByteOffset=0 ti=32 vIdx=0 rIdx=0 oIdx=0 buffer=1 iui=0
_ds_load_b128 v[vgprValuA_X1_I0+4:vgprValuA_X1_I0+4+3], v[vgprLocalReadAddrA] offset:3584 // L -> Reg lro=384 swapByteOffset=0 ti=32 vIdx=1 rIdx=0 oIdx=0 buffer=1 iui=0

/* local read b */
_ds_load_b128 v[vgprValuB_X1_I0+0:vgprValuB_X1_I0+0+3], v[vgprLocalReadAddrB] offset:3072 // L -> Reg lro=384 swapByteOffset=0 ti=16 vIdx=0 rIdx=0 oIdx=0 buffer=1 iui=0
_ds_load_b128 v[vgprValuB_X1_I0+4:vgprValuB_X1_I0+4+3], v[vgprLocalReadAddrB] offset:3328 // L -> Reg lro=384 swapByteOffset=0 ti=16 vIdx=1 rIdx=0 oIdx=0 buffer=1 iui=0
_ds_load_b128 v[vgprValuB_X1_I0+8:vgprValuB_X1_I0+8+3], v[vgprLocalReadAddrB] offset:3584 // L -> Reg lro=384 swapByteOffset=0 ti=16 vIdx=2 rIdx=0 oIdx=0 buffer=1 iui=0
_ds_load_b128 v[vgprValuB_X1_I0+12:vgprValuB_X1_I0+12+3], v[vgprLocalReadAddrB] offset:3840 // L -> Reg lro=384 swapByteOffset=0 ti=16 vIdx=3 rIdx=0 oIdx=0 buffer=1 iui=0

/* local read increment a */
/* N/A, lro->512 */
/* self.localReadDoCntA 0 self.localReadDoCntB 0 */

/* local read increment b */
/* N/A, lro->512 */
/* self.localReadDoCntA 0 self.localReadDoCntB 0 */
s_waitcnt lgkmcnt(6)                               // lgkmcnt=0 vmcnt=-1wait for prior local read local write old=0, new=6 newLW=0 newLR=0
MAC_4x8_X0

/* iter 3 (last unrolled loop) */


/* local read a */
_ds_load_b128 v[vgprValuA_X0_I0+0:vgprValuA_X0_I0+0+3], v[vgprLocalReadAddrA] offset:4096 // L -> Reg lro=512 swapByteOffset=0 ti=32 vIdx=0 rIdx=0 oIdx=0 buffer=0 iui=0
_ds_load_b128 v[vgprValuA_X0_I0+4:vgprValuA_X0_I0+4+3], v[vgprLocalReadAddrA] offset:4608 // L -> Reg lro=512 swapByteOffset=0 ti=32 vIdx=1 rIdx=0 oIdx=0 buffer=0 iui=0

/* local read b */
_ds_load_b128 v[vgprValuB_X0_I0+0:vgprValuB_X0_I0+0+3], v[vgprLocalReadAddrB] offset:4096 // L -> Reg lro=512 swapByteOffset=0 ti=16 vIdx=0 rIdx=0 oIdx=0 buffer=0 iui=0
_ds_load_b128 v[vgprValuB_X0_I0+4:vgprValuB_X0_I0+4+3], v[vgprLocalReadAddrB] offset:4352 // L -> Reg lro=512 swapByteOffset=0 ti=16 vIdx=1 rIdx=0 oIdx=0 buffer=0 iui=0
_ds_load_b128 v[vgprValuB_X0_I0+8:vgprValuB_X0_I0+8+3], v[vgprLocalReadAddrB] offset:4608 // L -> Reg lro=512 swapByteOffset=0 ti=16 vIdx=2 rIdx=0 oIdx=0 buffer=0 iui=0
_ds_load_b128 v[vgprValuB_X0_I0+12:vgprValuB_X0_I0+12+3], v[vgprLocalReadAddrB] offset:4864 // L -> Reg lro=512 swapByteOffset=0 ti=16 vIdx=3 rIdx=0 oIdx=0 buffer=0 iui=0

/* local read increment a */
/* N/A, lro->640 */
/* self.localReadDoCntA 0 self.localReadDoCntB 0 */

/* local read increment b */
/* N/A, lro->640 */
/* self.localReadDoCntA 0 self.localReadDoCntB 0 */
s_waitcnt lgkmcnt(6)                               // lgkmcnt=0 vmcnt=-1wait for prior local read local write old=0, new=6 newLW=0 newLR=0
MAC_4x8_X1

	;; [unrolled: 46-line block ×3, first 2 shown]
/* iter 6 (last unrolled loop) */


/* local read a */
_ds_load_b128 v[vgprValuA_X1_I0+0:vgprValuA_X1_I0+0+3], v[vgprLocalReadAddrA] offset:7168 // L -> Reg lro=896 swapByteOffset=0 ti=32 vIdx=0 rIdx=0 oIdx=0 buffer=1 iui=0
_ds_load_b128 v[vgprValuA_X1_I0+4:vgprValuA_X1_I0+4+3], v[vgprLocalReadAddrA] offset:7680 // L -> Reg lro=896 swapByteOffset=0 ti=32 vIdx=1 rIdx=0 oIdx=0 buffer=1 iui=0

/* local read b */
_ds_load_b128 v[vgprValuB_X1_I0+0:vgprValuB_X1_I0+0+3], v[vgprLocalReadAddrB] offset:7168 // L -> Reg lro=896 swapByteOffset=0 ti=16 vIdx=0 rIdx=0 oIdx=0 buffer=1 iui=0
_ds_load_b128 v[vgprValuB_X1_I0+4:vgprValuB_X1_I0+4+3], v[vgprLocalReadAddrB] offset:7424 // L -> Reg lro=896 swapByteOffset=0 ti=16 vIdx=1 rIdx=0 oIdx=0 buffer=1 iui=0
	;; [unrolled: 1-line block ×4, first 2 shown]
s_waitcnt lgkmcnt(6)                               // lgkmcnt=0 vmcnt=-1wait for prior local read local write old=0, new=6 newLW=0 newLR=0
MAC_4x8_X0

/* iter 7 (last unrolled loop) */

s_waitcnt lgkmcnt(0)                               // lgkmcnt=0 vmcnt=-1wait for prior local read local write old=0, new=0 newLW=0 newLR=0
MAC_4x8_X1
PrefetchGlobalLastIterEnd_5:


/******************************************/
/* Tail Loop                              */
/******************************************/


/* local write reset offsets a */


v_and_b32 v[vgprLocalWriteAddrA], 0xf03fff, v[vgprLocalWriteAddrA] // reset to Red


/* local write reset offsets b */


v_and_b32 v[vgprLocalWriteAddrB], 0xf03fff, v[vgprLocalWriteAddrB] // reset to Red


//numIterL = (((sizeL % LOCAL_DEPTHU) + LOCAL_SPLITU - 1) / LOCAL_SPLITU)
s_and_b32 s[sgprLoopCounterL], 7, s[sgprSizesSum+0] // s[sgprLoopCounterL] = s[sgprSizesSum+0] % 8
s_cmp_lg_u32 s[sgprGSUSumIdx], s[sgprGSUSumIdx+1]  // gsuSumIdx == numIterPerWgRemainder
s_cmov_b32 s[sgprLoopCounterL], 0x0                // numIter=0 if gsuSumIdx!=remainder
s_cmp_eq_u32 s[sgprLoopCounterL], 0x0              // numIterL == 0
s_cbranch_scc1 SkipTailLoopL_8                     // skip to end of tail loop b/c numIter==0
s_mov_b32 s[sgprOrigLoopCounter], 0                // repurpose to count each localRead increment


/* remove stagger offsets for tail loop */

s_mov_b32 s62, 3                                   // 
s_mul_hi_u32 s61, s62, s[sgprGlobalReadIncsA+0]    // 3 * GlobalReadIncs
s_mul_i32 s60, s62, s[sgprGlobalReadIncsA+0]       // 3 * GlobalReadIncs
s_mul_hi_u32 s63, s[sgprStaggerUIter], s[sgprGlobalReadIncsA+0] // StaggerUIter * GlobalReadIncs
s_mul_i32 s62, s[sgprStaggerUIter], s[sgprGlobalReadIncsA+0] // StaggerUIter * GlobalReadIncs
s_sub_u32 s60, s60, s62                            // start offset S in bytes
s_subb_u32 s61, s61, s63                           // start offset S in bytes
s_sub_u32 s60, s60, s[sgprWrapUA]                  // S - WrapU
s_subb_u32 s61, s61, s[sgprWrapUA+1]               // S - WrapU
s_add_u32 s[sgprSrdA+0], s[sgprSrdA+0], s60        // gra SRD += inc(lower)
s_addc_u32  s[sgprSrdA+1], s[sgprSrdA+1], s61      // gra SRD += inc(upper)
s_sub_u32 s[sgprShadowLimitA+0], s[sgprShadowLimitA+0], s60 // limit -= inc)
s_subb_u32 s[sgprShadowLimitA+1], s[sgprShadowLimitA+1], s61 // limit -= inc)
s_cmp_eq_u32 s[sgprShadowLimitA+1], 0              // are we within 2^32?
s_cselect_b32 s[sgprSrdA+2], s[sgprShadowLimitA+0], BufferLimitA // Move shadow to real if we are within 2^32

s_mov_b32 s62, 3                                   // 
s_mul_hi_u32 s61, s62, s[sgprGlobalReadIncsB+0]    // 3 * GlobalReadIncs
s_mul_i32 s60, s62, s[sgprGlobalReadIncsB+0]       // 3 * GlobalReadIncs
s_mul_hi_u32 s63, s[sgprStaggerUIter], s[sgprGlobalReadIncsB+0] // StaggerUIter * GlobalReadIncs
s_mul_i32 s62, s[sgprStaggerUIter], s[sgprGlobalReadIncsB+0] // StaggerUIter * GlobalReadIncs
s_sub_u32 s60, s60, s62                            // start offset S in bytes
s_subb_u32 s61, s61, s63                           // start offset S in bytes
s_sub_u32 s60, s60, s[sgprWrapUB]                  // S - WrapU
s_subb_u32 s61, s61, s[sgprWrapUB+1]               // S - WrapU
s_add_u32 s[sgprSrdB+0], s[sgprSrdB+0], s60        // gra SRD += inc(lower)
s_addc_u32  s[sgprSrdB+1], s[sgprSrdB+1], s61      // gra SRD += inc(upper)
s_sub_u32 s[sgprShadowLimitB+0], s[sgprShadowLimitB+0], s60 // limit -= inc)
s_subb_u32 s[sgprShadowLimitB+1], s[sgprShadowLimitB+1], s61 // limit -= inc)
s_cmp_eq_u32 s[sgprShadowLimitB+1], 0              // are we within 2^32?
s_cselect_b32 s[sgprSrdB+2], s[sgprShadowLimitB+0], BufferLimitB // Move shadow to real if we are within 2^32


/* Update M0 for DTLDS */


	;; [unrolled: 1-line block ×3, first 2 shown]
/* global read a */

/* g2l=0, load component 0 */
_buffer_load_b64 v[vgprG2LA+0+0:vgprG2LA+0+0+1], v[vgprGlobalReadOffsetA+0], s[sgprSrdA:sgprSrdA+3], 0, offen offset:0 // load one buffer value
/* g2l=0, load component 1 */
_buffer_load_b64 v[vgprG2LA+0+2:vgprG2LA+0+2+1], v[vgprGlobalReadOffsetA+0], s[sgprSrdA:sgprSrdA+3], 0, offen offset:8 // load one buffer value


/* Update M0 for DTLDS */


	;; [unrolled: 1-line block ×3, first 2 shown]
/* global read b */

/* g2l=0, load component 0 */
_buffer_load_b64 v[vgprG2LB+0+0:vgprG2LB+0+0+1], v[vgprGlobalReadOffsetB+0], s[sgprSrdB:sgprSrdB+3], 0, offen offset:0 // load one buffer value
/* g2l=0, load component 1 */
_buffer_load_b64 v[vgprG2LB+0+2:vgprG2LB+0+2+1], v[vgprGlobalReadOffsetB+0], s[sgprSrdB:sgprSrdB+3], 0, offen offset:8 // load one buffer value

s_waitcnt vmcnt(0)                                 // lgkmcnt=-1 vmcnt=02wait for global read

s_barrier //


/* Done global A/B reads */


	;; [unrolled: 1-line block ×4, first 2 shown]
/* local write a */

_ds_store_b64 v[vgprLocalWriteAddrA], v[vgprG2LA+0:vgprG2LA+0+1] offset:0 // lwoA_0_0_0_0 = (0 + 0*LSCA)*(MT0I+PAD) + (0*LSPA) = 0
_ds_store_b64 v[vgprLocalWriteAddrA], v[vgprG2LA+2:vgprG2LA+2+1] offset:1024 // lwoA_0_1_0_0 = (1 + 0*LSCA)*(MT0I+PAD) + (0*LSPA) = 1024


/* local write b */

_ds_store_b64 v[vgprLocalWriteAddrB], v[vgprG2LB+0:vgprG2LB+0+1] offset:0 // lwoB_0_0_0_0 = (0 + 0*LSCB)*(MT1J+PAD) + (0*LSPB) = 0
_ds_store_b64 v[vgprLocalWriteAddrB], v[vgprG2LB+2:vgprG2LB+2+1] offset:1024 // lwoB_0_1_0_0 = (1 + 0*LSCB)*(MT1J+PAD) + (0*LSPB) = 1024


/* Recalc local read offsets */


s_waitcnt lgkmcnt(0)                               // lgkmcnt=0 vmcnt=-15wait for local write

s_barrier //


/* local read reset offsets a */


/* localReadResetOffsets */
/* handled internally */
v_and_b32 v[vgprLocalReadAddrA], 0x3fff, v[vgprLocalReadAddrA] // reset Red,Blk -> Red


/* local read reset offsets b */


/* localReadResetOffsets */
/* handled internally */
v_and_b32 v[vgprLocalReadAddrB], 0x3fff, v[vgprLocalReadAddrB] // reset Red,Blk -> Red


/* local read init pointers a */


/* localReadInitPointers */


/* local read init pointers b */


/* localReadInitPointers */


/* tail loop: macs */

TailLoopBeginL_6:


/* local read a */

_ds_load_b128 v[vgprValuA_X0_I0+0:vgprValuA_X0_I0+0+3], v[vgprLocalReadAddrA] offset:0 // L -> Reg lro=0 swapByteOffset=0 ti=32 vIdx=0 rIdx=0 oIdx=0 buffer=0 iui=0
_ds_load_b128 v[vgprValuA_X0_I0+4:vgprValuA_X0_I0+4+3], v[vgprLocalReadAddrA] offset:512 // L -> Reg lro=0 swapByteOffset=0 ti=32 vIdx=1 rIdx=0 oIdx=0 buffer=0 iui=0


/* local read b */

_ds_load_b128 v[vgprValuB_X0_I0+0:vgprValuB_X0_I0+0+3], v[vgprLocalReadAddrB] offset:0 // L -> Reg lro=0 swapByteOffset=0 ti=16 vIdx=0 rIdx=0 oIdx=0 buffer=0 iui=0
_ds_load_b128 v[vgprValuB_X0_I0+4:vgprValuB_X0_I0+4+3], v[vgprLocalReadAddrB] offset:256 // L -> Reg lro=0 swapByteOffset=0 ti=16 vIdx=1 rIdx=0 oIdx=0 buffer=0 iui=0
	;; [unrolled: 1-line block ×4, first 2 shown]


/* local read inc a */

s_mov_b32 s10, 0x400                               // inc
_v_add_co_u32 v[vgprLocalReadAddrA], vcc, s10, v[vgprLocalReadAddrA] // lrA += 1024 (LSU*(MT+PAD)*bpe)


/* local read inc b */

s_mov_b32 s10, 0x400                               // inc
_v_add_co_u32 v[vgprLocalReadAddrB], vcc, s10, v[vgprLocalReadAddrB] // lrB += 1024 (LSU*(MT+PAD)*bpe)

s_waitcnt lgkmcnt(0)                               // lgkmcnt=0 vmcnt=-14wait for local read

MAC_4x8_X0

/* closeLoop loopL finalLoop=1 tailLoop=1 */
s_sub_i32 s[sgprLoopCounterL], s[sgprLoopCounterL], 0x1 // dec counterL (tailLoop)
s_add_u32 s[sgprOrigLoopCounter], s[sgprOrigLoopCounter], 0x1 // inc counterL
s_cmp_le_i32 s[sgprLoopCounterL], 0x0              // counterL<=0
s_cbranch_scc0 TailLoopBeginL_6                    // restart LoopL
TailLoopEndL_7:

SkipTailLoopL_8:

Summation_End_17:
/* endSummation: add vgpr [64...124) to pool */


	;; [unrolled: 1-line block ×3, first 2 shown]
/* not-LocalSplitU: global write indices */

/* computeStoreVgprs */
v_lshrrev_b32 v65, 5, v[vgprSerial]                // v65 = v[vgprSerial] / 32
v_and_b32 v64, 31, v[vgprSerial]                   // v64 = v[vgprSerial] % 32
v_lshlrev_b32 v64, 0x1, v64                        // v64 = v64 * 2
v_lshlrev_b32 v65, 0x1, v65                        // v65 = v65 * 2
v_mul_lo_u32 v66, v65, s[sgprStrideC1J]            // rowStart vgpr
v_mul_lo_u32 v67, v65, s[sgprStrideD1J]            // rowStart vgpr

s_mul_i32 s60, 0x80, s[sgprWorkGroup0]             // s60 = wg0*MT0
_v_add_co_u32 v64, vcc, s60, v64                   // coord0 = tid0*VW + wg0*MT0
s_mul_i32 s62, 0x80, s[sgprWorkGroup1]             // <- wg1*MT1
_v_add_co_u32 v65, vcc, s62, v65                   // coord1 = tid1*VW + wg1*MT1


/* not-LocalSplitU: global write */

s_and_b32 s60, 127, s[sgprSizeI]                   // s60 = s[sgprSizeI] % 128
s_add_u32 s61, -0x1, s[sgprNumWorkGroups0]         // 
s_cmp_ge_u32 s[sgprWorkGroup0], s61                // wg0 >= nwg0-1 ?
s_cselect_b32 s60, s60, 0                          // set rMT0
s_cmpk_gt_u32 s60, 0x0                             // rMT0 > 0
s_cbranch_scc1 GW_B0_E1_23                         // jump if edges required
s_and_b32 s60, 127, s[sgprSizeJ]                   // s60 = s[sgprSizeJ] % 128
s_add_u32 s61, -0x1, s[sgprNumWorkGroups1]         // 
s_cmp_ge_u32 s[sgprWorkGroup1], s61                // wg1 >= nwg1-1
s_cselect_b32 s60, s60, 0                          // set rMT1
s_cmpk_gt_u32 s60, 0x0                             // rMT1 > 0
s_cbranch_scc1 GW_B0_E1_23                         // jump if edges required
GW_B0_E0_20:

/* edge=0, allocate 24 sgpr. perBatchTmpS=4 perBatchMaskS=0 perElementMaskS=4 elementsPerBatch=5 */
/* optSingleColVgpr=0 optSharedColVgpr=0 optSGPRUsage=None optSrdIncForRow=0 */

/******************************************/
/* Global Write Alpha Batch #0 (d1,d0,vc1,vc0) = */
/*    (0,0,0,0:vw2:vaw:1); (0,1,0,0:vw2:vaw:1); (0,0,1,0:vw2:vaw:1); (0,1,1,0:vw2:vaw:1); (1,0,0,0:vw2:vaw:1) */
/******************************************/

/* calc coords, apply mask, and issue loads (if necessary) */
/* (d1,vc1,d0,vc0)=(0,0,0,0) */
_v_add_lshl_u32 v70, v67, v64, 0x3                 // scaleToBpe: accumulate d0 lower and *= bpe into Cin addr
_buffer_load_b128 v[76:79], v70, s[sgprSrdD:sgprSrdD+3], 0, offen offset:0 // load D (atomic) bpm=16 vaw=1
/* (d1,vc1,d0,vc0)=(0,0,1,0) */
_v_add_co_u32 v68, vcc, v64, 64                    // coord0.1: coord0 += d0*sg0*VW + vc0
_v_add_lshl_u32 v71, v67, v68, 0x3                 // scaleToBpe: accumulate d0 lower and *= bpe into Cin addr
_buffer_load_b128 v[84:87], v71, s[sgprSrdD:sgprSrdD+3], 0, offen offset:0 // load D (atomic) bpm=16 vaw=1
/* (d1,vc1,d0,vc0)=(0,1,0,0) */

/* Fix for UseInitialStridesCD, emitAddressSetupCode */
_v_add_u32 v66, v66, s[sgprStrideC1J]              // ROWINC- Move cinRowPtr to next row
_v_add_u32 v67, v67, s[sgprStrideD1J]              // Move coutRowPtr to next row
_v_add_lshl_u32 v88, v67, v64, 0x3                 // scaleToBpe: accumulate d0 lower and *= bpe into Cin addr
_buffer_load_b128 v[100:103], v88, s[sgprSrdD:sgprSrdD+3], 0, offen offset:0 // load D (atomic) bpm=16 vaw=1
/* (d1,vc1,d0,vc0)=(0,1,1,0) */
_v_add_co_u32 v68, vcc, v64, 64                    // coord0.1: coord0 += d0*sg0*VW + vc0
_v_add_lshl_u32 v89, v67, v68, 0x3                 // scaleToBpe: accumulate d0 lower and *= bpe into Cin addr
_buffer_load_b128 v[108:111], v89, s[sgprSrdD:sgprSrdD+3], 0, offen offset:0 // load D (atomic) bpm=16 vaw=1
/* (d1,vc1,d0,vc0)=(1,0,0,0) */

/* Fix for UseInitialStridesCD, emitAddressSetupCode */
s_mul_i32 s60, s[sgprStrideC1J], 31                // scale stride
_v_add_u32 v66, v66, s60                           // ROWINC- Move cinRowPtr to next row
s_mul_i32 s60, s[sgprStrideD1J], 31                // scale stride
_v_add_u32 v67, v67, s60                           // Move coutRowPtr to next row
_v_add_lshl_u32 v90, v67, v64, 0x3                 // scaleToBpe: accumulate d0 lower and *= bpe into Cin addr
_buffer_load_b128 v[116:119], v90, s[sgprSrdD:sgprSrdD+3], 0, offen offset:0 // load D (atomic) bpm=16 vaw=1

/* rC *= alpha batchElements=[(0, 0, 0, 0), (0, 1, 0, 0), (0, 0, 1, 0), (0, 1, 1, 0), (1, 0, 0, 0)] */
v_mul_f64 v[vgprValuC+0:vgprValuC+0+1], s[sgprAlpha:sgprAlpha+1], v[vgprValuC+0:vgprValuC+0+1] // *= alpha
v_mul_f64 v[vgprValuC+2:vgprValuC+2+1], s[sgprAlpha:sgprAlpha+1], v[vgprValuC+2:vgprValuC+2+1] // *= alpha
	;; [unrolled: 1-line block ×10, first 2 shown]
s_waitcnt vmcnt(0)                                 // wait C (atomic)

/* issue first atomic writes */
v_mov_b32 v74, v76                                 // v_mov for reordering loaded data
v_mov_b32 v75, v77                                 // v_mov for reordering loaded data
v_add_f64 v[72:73], v[74:75], v[vgprValuC+0:vgprValuC+0+1] // desired value
_buffer_atomic_cmpswap_b64 v[72:75], v70, s[sgprSrdD:sgprSrdD+3] 0 offen offset:0 glc   // attempt write
v_add_f64 v[76:77], v[78:79], v[vgprValuC+2:vgprValuC+2+1] // desired value
_buffer_atomic_cmpswap_b64 v[76:79], v70, s[sgprSrdD:sgprSrdD+3] 0 offen offset:8 glc   // attempt write
v_mov_b32 v82, v84                                 // v_mov for reordering loaded data
v_mov_b32 v83, v85                                 // v_mov for reordering loaded data
v_add_f64 v[80:81], v[82:83], v[vgprValuC+4:vgprValuC+4+1] // desired value
_buffer_atomic_cmpswap_b64 v[80:83], v71, s[sgprSrdD:sgprSrdD+3] 0 offen offset:0 glc   // attempt write
v_add_f64 v[84:85], v[86:87], v[vgprValuC+6:vgprValuC+6+1] // desired value
_buffer_atomic_cmpswap_b64 v[84:87], v71, s[sgprSrdD:sgprSrdD+3] 0 offen offset:8 glc   // attempt write
v_mov_b32 v98, v100                                // v_mov for reordering loaded data
v_mov_b32 v99, v101                                // v_mov for reordering loaded data
v_add_f64 v[96:97], v[98:99], v[vgprValuC+8:vgprValuC+8+1] // desired value
_buffer_atomic_cmpswap_b64 v[96:99], v88, s[sgprSrdD:sgprSrdD+3] 0 offen offset:0 glc   // attempt write
v_add_f64 v[100:101], v[102:103], v[vgprValuC+10:vgprValuC+10+1] // desired value
_buffer_atomic_cmpswap_b64 v[100:103], v88, s[sgprSrdD:sgprSrdD+3] 0 offen offset:8 glc   // attempt write
v_mov_b32 v106, v108                               // v_mov for reordering loaded data
v_mov_b32 v107, v109                               // v_mov for reordering loaded data
v_add_f64 v[104:105], v[106:107], v[vgprValuC+12:vgprValuC+12+1] // desired value
_buffer_atomic_cmpswap_b64 v[104:107], v89, s[sgprSrdD:sgprSrdD+3] 0 offen offset:0 glc   // attempt write
v_add_f64 v[108:109], v[110:111], v[vgprValuC+14:vgprValuC+14+1] // desired value
_buffer_atomic_cmpswap_b64 v[108:111], v89, s[sgprSrdD:sgprSrdD+3] 0 offen offset:8 glc   // attempt write
v_mov_b32 v114, v116                               // v_mov for reordering loaded data
v_mov_b32 v115, v117                               // v_mov for reordering loaded data
v_add_f64 v[112:113], v[114:115], v[vgprValuC+16:vgprValuC+16+1] // desired value
_buffer_atomic_cmpswap_b64 v[112:115], v90, s[sgprSrdD:sgprSrdD+3] 0 offen offset:0 glc   // attempt write
v_add_f64 v[116:117], v[118:119], v[vgprValuC+18:vgprValuC+18+1] // desired value
_buffer_atomic_cmpswap_b64 v[116:119], v90, s[sgprSrdD:sgprSrdD+3] 0 offen offset:8 glc   // attempt write
s_waitcnt vmcnt(0)                                 // wait for atomic writes

/* check success of writes, update masks */
v_cmp_ne_u64 s[64:65], v[72:73], v[74:75]          // c read during atomic != c read during prior load
v_cmp_ne_u64 s[66:67], v[76:77], v[78:79]          // c read during atomic != c read during prior load
	;; [unrolled: 1-line block ×5, first 2 shown]
v_cmp_ne_u64 s[74:75], v[100:101], v[102:103]      // c read during atomic != c read during prior load
v_cmp_ne_u64 s[76:77], v[104:105], v[106:107]      // c read during atomic != c read during prior load
v_cmp_ne_u64 s[78:79], v[108:109], v[110:111]      // c read during atomic != c read during prior load
v_cmp_ne_u64 s[80:81], v[112:113], v[114:115]      // c read during atomic != c read during prior load
v_cmp_ne_u64 s[82:83], v[116:117], v[118:119]      // c read during atomic != c read during prior load

/* or masks to check for exit */
s_mov_b64 s[60:61], 0x0                            // empty mask
s_or_b64 s[60:61], s[64:65], s[60:61]              // or to add threads
s_or_b64 s[60:61], s[66:67], s[60:61]              // or to add threads
	;; [unrolled: 1-line block ×10, first 2 shown]
s_or_saveexec_b64 s[62:63], s[60:61]               // apply combined mask
s_cbranch_execz label_0031                         // if exec is zero skip loop

/* atomic CAS loop */
label_0030:

/* apply updated masks and issue writes again */
s_mov_b64 exec, s[64:65]                           // must try again
v_mov_b32 v74, v72                                 // dataV+2 = tmp (new original C)
v_mov_b32 v75, v73                                 // dataV+3 = tmp (new original C)
v_add_f64 v[72:73], v[74:75], v[vgprValuC+0:vgprValuC+0+1] // newC = rC + originalC
_buffer_atomic_cmpswap_b64 v[72:75], v70, s[sgprSrdD:sgprSrdD+3] 0 offen offset:0 glc   // attempt write
s_mov_b64 exec, s[66:67]                           // must try again
v_mov_b32 v78, v76                                 // dataV+2 = tmp (new original C)
v_mov_b32 v79, v77                                 // dataV+3 = tmp (new original C)
v_add_f64 v[76:77], v[78:79], v[vgprValuC+2:vgprValuC+2+1] // newC = rC + originalC
_buffer_atomic_cmpswap_b64 v[76:79], v70, s[sgprSrdD:sgprSrdD+3] 0 offen offset:8 glc   // attempt write
	;; [unrolled: 5-line block ×5, first 2 shown]
s_mov_b64 exec, s[74:75]                           // must try again
v_mov_b32 v102, v100                               // dataV+2 = tmp (new original C)
v_mov_b32 v103, v101                               // dataV+3 = tmp (new original C)
v_add_f64 v[100:101], v[102:103], v[vgprValuC+10:vgprValuC+10+1] // newC = rC + originalC
_buffer_atomic_cmpswap_b64 v[100:103], v88, s[sgprSrdD:sgprSrdD+3] 0 offen offset:8 glc   // attempt write
s_mov_b64 exec, s[76:77]                           // must try again
v_mov_b32 v106, v104                               // dataV+2 = tmp (new original C)
v_mov_b32 v107, v105                               // dataV+3 = tmp (new original C)
v_add_f64 v[104:105], v[106:107], v[vgprValuC+12:vgprValuC+12+1] // newC = rC + originalC
_buffer_atomic_cmpswap_b64 v[104:107], v89, s[sgprSrdD:sgprSrdD+3] 0 offen offset:0 glc   // attempt write
	;; [unrolled: 5-line block ×5, first 2 shown]
s_waitcnt vmcnt(0)                                 // wait for atomic writes

/* apply masks and check for success */
s_mov_b64 exec, s[64:65]                           // must try again
v_cmp_ne_u64 s[60:61], v[72:73], v[74:75]          // c read during atomic != c read during prior load
s_and_b64 s[64:65], s[60:61], s[64:65]             // inBounds & must try again
s_mov_b64 exec, s[66:67]                           // must try again
v_cmp_ne_u64 s[60:61], v[76:77], v[78:79]          // c read during atomic != c read during prior load
s_and_b64 s[66:67], s[60:61], s[66:67]             // inBounds & must try again
	;; [unrolled: 3-line block ×5, first 2 shown]
s_mov_b64 exec, s[74:75]                           // must try again
v_cmp_ne_u64 s[60:61], v[100:101], v[102:103]      // c read during atomic != c read during prior load
s_and_b64 s[74:75], s[60:61], s[74:75]             // inBounds & must try again
s_mov_b64 exec, s[76:77]                           // must try again
v_cmp_ne_u64 s[60:61], v[104:105], v[106:107]      // c read during atomic != c read during prior load
s_and_b64 s[76:77], s[60:61], s[76:77]             // inBounds & must try again
	;; [unrolled: 3-line block ×5, first 2 shown]

/* or masks to check for exit */
s_mov_b64 s[60:61], 0x0                            // empty mask
s_or_b64 s[60:61], s[64:65], s[60:61]              // or to add threads
s_or_b64 s[60:61], s[66:67], s[60:61]              // or to add threads
	;; [unrolled: 1-line block ×10, first 2 shown]
s_or_saveexec_b64 s[62:63], s[60:61]               // apply combined mask
s_cbranch_execnz label_0030                        // try again if not complete
label_0031:
s_mov_b64 exec, -1                                 // full mask -> exec
/* optSingleColVgpr=0 optSharedColVgpr=0 optSGPRUsage=None optSrdIncForRow=0 */

/******************************************/
/* Global Write Alpha Batch #1 (d1,d0,vc1,vc0) = */
/*    (1,1,0,0:vw2:vaw:1); (1,0,1,0:vw2:vaw:1); (1,1,1,0:vw2:vaw:1); (2,0,0,0:vw2:vaw:1); (2,1,0,0:vw2:vaw:1) */
/******************************************/

/* calc coords, apply mask, and issue loads (if necessary) */
/* (d1,vc1,d0,vc0)=(1,0,1,0) */
_v_add_co_u32 v68, vcc, v64, 64                    // coord0.1: coord0 += d0*sg0*VW + vc0
_v_add_lshl_u32 v70, v67, v68, 0x3                 // scaleToBpe: accumulate d0 lower and *= bpe into Cin addr
_buffer_load_b128 v[76:79], v70, s[sgprSrdD:sgprSrdD+3], 0, offen offset:0 // load D (atomic) bpm=16 vaw=1
/* (d1,vc1,d0,vc0)=(1,1,0,0) */

/* Fix for UseInitialStridesCD, emitAddressSetupCode */
_v_add_u32 v66, v66, s[sgprStrideC1J]              // ROWINC- Move cinRowPtr to next row
_v_add_u32 v67, v67, s[sgprStrideD1J]              // Move coutRowPtr to next row
_v_add_lshl_u32 v71, v67, v64, 0x3                 // scaleToBpe: accumulate d0 lower and *= bpe into Cin addr
_buffer_load_b128 v[84:87], v71, s[sgprSrdD:sgprSrdD+3], 0, offen offset:0 // load D (atomic) bpm=16 vaw=1
/* (d1,vc1,d0,vc0)=(1,1,1,0) */
_v_add_co_u32 v68, vcc, v64, 64                    // coord0.1: coord0 += d0*sg0*VW + vc0
_v_add_lshl_u32 v88, v67, v68, 0x3                 // scaleToBpe: accumulate d0 lower and *= bpe into Cin addr
_buffer_load_b128 v[100:103], v88, s[sgprSrdD:sgprSrdD+3], 0, offen offset:0 // load D (atomic) bpm=16 vaw=1
/* (d1,vc1,d0,vc0)=(2,0,0,0) */

/* Fix for UseInitialStridesCD, emitAddressSetupCode */
s_mul_i32 s60, s[sgprStrideC1J], 31                // scale stride
_v_add_u32 v66, v66, s60                           // ROWINC- Move cinRowPtr to next row
s_mul_i32 s60, s[sgprStrideD1J], 31                // scale stride
_v_add_u32 v67, v67, s60                           // Move coutRowPtr to next row
_v_add_lshl_u32 v89, v67, v64, 0x3                 // scaleToBpe: accumulate d0 lower and *= bpe into Cin addr
_buffer_load_b128 v[108:111], v89, s[sgprSrdD:sgprSrdD+3], 0, offen offset:0 // load D (atomic) bpm=16 vaw=1
/* (d1,vc1,d0,vc0)=(2,0,1,0) */
_v_add_co_u32 v68, vcc, v64, 64                    // coord0.1: coord0 += d0*sg0*VW + vc0
_v_add_lshl_u32 v90, v67, v68, 0x3                 // scaleToBpe: accumulate d0 lower and *= bpe into Cin addr
_buffer_load_b128 v[116:119], v90, s[sgprSrdD:sgprSrdD+3], 0, offen offset:0 // load D (atomic) bpm=16 vaw=1

/* rC *= alpha batchElements=[(1, 1, 0, 0), (1, 0, 1, 0), (1, 1, 1, 0), (2, 0, 0, 0), (2, 1, 0, 0)] */
v_mul_f64 v[vgprValuC+20:vgprValuC+20+1], s[sgprAlpha:sgprAlpha+1], v[vgprValuC+20:vgprValuC+20+1] // *= alpha
v_mul_f64 v[vgprValuC+22:vgprValuC+22+1], s[sgprAlpha:sgprAlpha+1], v[vgprValuC+22:vgprValuC+22+1] // *= alpha
	;; [unrolled: 1-line block ×10, first 2 shown]
s_waitcnt vmcnt(0)                                 // wait C (atomic)

/* issue first atomic writes */
v_mov_b32 v74, v76                                 // v_mov for reordering loaded data
v_mov_b32 v75, v77                                 // v_mov for reordering loaded data
v_add_f64 v[72:73], v[74:75], v[vgprValuC+20:vgprValuC+20+1] // desired value
_buffer_atomic_cmpswap_b64 v[72:75], v70, s[sgprSrdD:sgprSrdD+3] 0 offen offset:0 glc   // attempt write
v_add_f64 v[76:77], v[78:79], v[vgprValuC+22:vgprValuC+22+1] // desired value
_buffer_atomic_cmpswap_b64 v[76:79], v70, s[sgprSrdD:sgprSrdD+3] 0 offen offset:8 glc   // attempt write
v_mov_b32 v82, v84                                 // v_mov for reordering loaded data
v_mov_b32 v83, v85                                 // v_mov for reordering loaded data
v_add_f64 v[80:81], v[82:83], v[vgprValuC+24:vgprValuC+24+1] // desired value
_buffer_atomic_cmpswap_b64 v[80:83], v71, s[sgprSrdD:sgprSrdD+3] 0 offen offset:0 glc   // attempt write
v_add_f64 v[84:85], v[86:87], v[vgprValuC+26:vgprValuC+26+1] // desired value
_buffer_atomic_cmpswap_b64 v[84:87], v71, s[sgprSrdD:sgprSrdD+3] 0 offen offset:8 glc   // attempt write
v_mov_b32 v98, v100                                // v_mov for reordering loaded data
v_mov_b32 v99, v101                                // v_mov for reordering loaded data
v_add_f64 v[96:97], v[98:99], v[vgprValuC+28:vgprValuC+28+1] // desired value
_buffer_atomic_cmpswap_b64 v[96:99], v88, s[sgprSrdD:sgprSrdD+3] 0 offen offset:0 glc   // attempt write
v_add_f64 v[100:101], v[102:103], v[vgprValuC+30:vgprValuC+30+1] // desired value
_buffer_atomic_cmpswap_b64 v[100:103], v88, s[sgprSrdD:sgprSrdD+3] 0 offen offset:8 glc   // attempt write
v_mov_b32 v106, v108                               // v_mov for reordering loaded data
v_mov_b32 v107, v109                               // v_mov for reordering loaded data
v_add_f64 v[104:105], v[106:107], v[vgprValuC+32:vgprValuC+32+1] // desired value
_buffer_atomic_cmpswap_b64 v[104:107], v89, s[sgprSrdD:sgprSrdD+3] 0 offen offset:0 glc   // attempt write
v_add_f64 v[108:109], v[110:111], v[vgprValuC+34:vgprValuC+34+1] // desired value
_buffer_atomic_cmpswap_b64 v[108:111], v89, s[sgprSrdD:sgprSrdD+3] 0 offen offset:8 glc   // attempt write
v_mov_b32 v114, v116                               // v_mov for reordering loaded data
v_mov_b32 v115, v117                               // v_mov for reordering loaded data
v_add_f64 v[112:113], v[114:115], v[vgprValuC+36:vgprValuC+36+1] // desired value
_buffer_atomic_cmpswap_b64 v[112:115], v90, s[sgprSrdD:sgprSrdD+3] 0 offen offset:0 glc   // attempt write
v_add_f64 v[116:117], v[118:119], v[vgprValuC+38:vgprValuC+38+1] // desired value
_buffer_atomic_cmpswap_b64 v[116:119], v90, s[sgprSrdD:sgprSrdD+3] 0 offen offset:8 glc   // attempt write
s_waitcnt vmcnt(0)                                 // wait for atomic writes

/* check success of writes, update masks */
v_cmp_ne_u64 s[64:65], v[72:73], v[74:75]          // c read during atomic != c read during prior load
v_cmp_ne_u64 s[66:67], v[76:77], v[78:79]          // c read during atomic != c read during prior load
	;; [unrolled: 1-line block ×5, first 2 shown]
v_cmp_ne_u64 s[74:75], v[100:101], v[102:103]      // c read during atomic != c read during prior load
v_cmp_ne_u64 s[76:77], v[104:105], v[106:107]      // c read during atomic != c read during prior load
	;; [unrolled: 1-line block ×5, first 2 shown]

/* or masks to check for exit */
s_mov_b64 s[60:61], 0x0                            // empty mask
s_or_b64 s[60:61], s[64:65], s[60:61]              // or to add threads
s_or_b64 s[60:61], s[66:67], s[60:61]              // or to add threads
	;; [unrolled: 1-line block ×10, first 2 shown]
s_or_saveexec_b64 s[62:63], s[60:61]               // apply combined mask
s_cbranch_execz label_0033                         // if exec is zero skip loop

/* atomic CAS loop */
label_0032:

/* apply updated masks and issue writes again */
s_mov_b64 exec, s[64:65]                           // must try again
v_mov_b32 v74, v72                                 // dataV+2 = tmp (new original C)
v_mov_b32 v75, v73                                 // dataV+3 = tmp (new original C)
v_add_f64 v[72:73], v[74:75], v[vgprValuC+20:vgprValuC+20+1] // newC = rC + originalC
_buffer_atomic_cmpswap_b64 v[72:75], v70, s[sgprSrdD:sgprSrdD+3] 0 offen offset:0 glc   // attempt write
s_mov_b64 exec, s[66:67]                           // must try again
v_mov_b32 v78, v76                                 // dataV+2 = tmp (new original C)
v_mov_b32 v79, v77                                 // dataV+3 = tmp (new original C)
v_add_f64 v[76:77], v[78:79], v[vgprValuC+22:vgprValuC+22+1] // newC = rC + originalC
_buffer_atomic_cmpswap_b64 v[76:79], v70, s[sgprSrdD:sgprSrdD+3] 0 offen offset:8 glc   // attempt write
	;; [unrolled: 5-line block ×5, first 2 shown]
s_mov_b64 exec, s[74:75]                           // must try again
v_mov_b32 v102, v100                               // dataV+2 = tmp (new original C)
v_mov_b32 v103, v101                               // dataV+3 = tmp (new original C)
v_add_f64 v[100:101], v[102:103], v[vgprValuC+30:vgprValuC+30+1] // newC = rC + originalC
_buffer_atomic_cmpswap_b64 v[100:103], v88, s[sgprSrdD:sgprSrdD+3] 0 offen offset:8 glc   // attempt write
s_mov_b64 exec, s[76:77]                           // must try again
v_mov_b32 v106, v104                               // dataV+2 = tmp (new original C)
v_mov_b32 v107, v105                               // dataV+3 = tmp (new original C)
v_add_f64 v[104:105], v[106:107], v[vgprValuC+32:vgprValuC+32+1] // newC = rC + originalC
_buffer_atomic_cmpswap_b64 v[104:107], v89, s[sgprSrdD:sgprSrdD+3] 0 offen offset:0 glc   // attempt write
	;; [unrolled: 5-line block ×5, first 2 shown]
s_waitcnt vmcnt(0)                                 // wait for atomic writes

/* apply masks and check for success */
s_mov_b64 exec, s[64:65]                           // must try again
v_cmp_ne_u64 s[60:61], v[72:73], v[74:75]          // c read during atomic != c read during prior load
s_and_b64 s[64:65], s[60:61], s[64:65]             // inBounds & must try again
s_mov_b64 exec, s[66:67]                           // must try again
v_cmp_ne_u64 s[60:61], v[76:77], v[78:79]          // c read during atomic != c read during prior load
s_and_b64 s[66:67], s[60:61], s[66:67]             // inBounds & must try again
	;; [unrolled: 3-line block ×5, first 2 shown]
s_mov_b64 exec, s[74:75]                           // must try again
v_cmp_ne_u64 s[60:61], v[100:101], v[102:103]      // c read during atomic != c read during prior load
s_and_b64 s[74:75], s[60:61], s[74:75]             // inBounds & must try again
s_mov_b64 exec, s[76:77]                           // must try again
v_cmp_ne_u64 s[60:61], v[104:105], v[106:107]      // c read during atomic != c read during prior load
s_and_b64 s[76:77], s[60:61], s[76:77]             // inBounds & must try again
s_mov_b64 exec, s[78:79]                           // must try again
v_cmp_ne_u64 s[60:61], v[108:109], v[110:111]      // c read during atomic != c read during prior load
s_and_b64 s[78:79], s[60:61], s[78:79]             // inBounds & must try again
s_mov_b64 exec, s[80:81]                           // must try again
v_cmp_ne_u64 s[60:61], v[112:113], v[114:115]      // c read during atomic != c read during prior load
s_and_b64 s[80:81], s[60:61], s[80:81]             // inBounds & must try again
s_mov_b64 exec, s[82:83]                           // must try again
v_cmp_ne_u64 s[60:61], v[116:117], v[118:119]      // c read during atomic != c read during prior load
s_and_b64 s[82:83], s[60:61], s[82:83]             // inBounds & must try again

/* or masks to check for exit */
s_mov_b64 s[60:61], 0x0                            // empty mask
s_or_b64 s[60:61], s[64:65], s[60:61]              // or to add threads
s_or_b64 s[60:61], s[66:67], s[60:61]              // or to add threads
	;; [unrolled: 1-line block ×10, first 2 shown]
s_or_saveexec_b64 s[62:63], s[60:61]               // apply combined mask
s_cbranch_execnz label_0032                        // try again if not complete
label_0033:
s_mov_b64 exec, -1                                 // full mask -> exec
/* optSingleColVgpr=0 optSharedColVgpr=0 optSGPRUsage=None optSrdIncForRow=0 */

/******************************************/
/* Global Write Alpha Batch #2 (d1,d0,vc1,vc0) = */
/*    (2,0,1,0:vw2:vaw:1); (2,1,1,0:vw2:vaw:1); (3,0,0,0:vw2:vaw:1); (3,1,0,0:vw2:vaw:1); (3,0,1,0:vw2:vaw:1) */
/******************************************/

/* calc coords, apply mask, and issue loads (if necessary) */
/* (d1,vc1,d0,vc0)=(2,1,0,0) */

/* Fix for UseInitialStridesCD, emitAddressSetupCode */
_v_add_u32 v66, v66, s[sgprStrideC1J]              // ROWINC- Move cinRowPtr to next row
_v_add_u32 v67, v67, s[sgprStrideD1J]              // Move coutRowPtr to next row
_v_add_lshl_u32 v70, v67, v64, 0x3                 // scaleToBpe: accumulate d0 lower and *= bpe into Cin addr
_buffer_load_b128 v[76:79], v70, s[sgprSrdD:sgprSrdD+3], 0, offen offset:0 // load D (atomic) bpm=16 vaw=1
/* (d1,vc1,d0,vc0)=(2,1,1,0) */
_v_add_co_u32 v68, vcc, v64, 64                    // coord0.1: coord0 += d0*sg0*VW + vc0
_v_add_lshl_u32 v71, v67, v68, 0x3                 // scaleToBpe: accumulate d0 lower and *= bpe into Cin addr
_buffer_load_b128 v[84:87], v71, s[sgprSrdD:sgprSrdD+3], 0, offen offset:0 // load D (atomic) bpm=16 vaw=1
/* (d1,vc1,d0,vc0)=(3,0,0,0) */

/* Fix for UseInitialStridesCD, emitAddressSetupCode */
s_mul_i32 s60, s[sgprStrideC1J], 31                // scale stride
_v_add_u32 v66, v66, s60                           // ROWINC- Move cinRowPtr to next row
s_mul_i32 s60, s[sgprStrideD1J], 31                // scale stride
_v_add_u32 v67, v67, s60                           // Move coutRowPtr to next row
_v_add_lshl_u32 v88, v67, v64, 0x3                 // scaleToBpe: accumulate d0 lower and *= bpe into Cin addr
_buffer_load_b128 v[100:103], v88, s[sgprSrdD:sgprSrdD+3], 0, offen offset:0 // load D (atomic) bpm=16 vaw=1
/* (d1,vc1,d0,vc0)=(3,0,1,0) */
_v_add_co_u32 v68, vcc, v64, 64                    // coord0.1: coord0 += d0*sg0*VW + vc0
_v_add_lshl_u32 v89, v67, v68, 0x3                 // scaleToBpe: accumulate d0 lower and *= bpe into Cin addr
_buffer_load_b128 v[108:111], v89, s[sgprSrdD:sgprSrdD+3], 0, offen offset:0 // load D (atomic) bpm=16 vaw=1
/* (d1,vc1,d0,vc0)=(3,1,0,0) */

/* Fix for UseInitialStridesCD, emitAddressSetupCode */
_v_add_u32 v66, v66, s[sgprStrideC1J]              // ROWINC- Move cinRowPtr to next row
_v_add_u32 v67, v67, s[sgprStrideD1J]              // Move coutRowPtr to next row
_v_add_lshl_u32 v90, v67, v64, 0x3                 // scaleToBpe: accumulate d0 lower and *= bpe into Cin addr
_buffer_load_b128 v[116:119], v90, s[sgprSrdD:sgprSrdD+3], 0, offen offset:0 // load D (atomic) bpm=16 vaw=1

/* rC *= alpha batchElements=[(2, 0, 1, 0), (2, 1, 1, 0), (3, 0, 0, 0), (3, 1, 0, 0), (3, 0, 1, 0)] */
v_mul_f64 v[vgprValuC+40:vgprValuC+40+1], s[sgprAlpha:sgprAlpha+1], v[vgprValuC+40:vgprValuC+40+1] // *= alpha
v_mul_f64 v[vgprValuC+42:vgprValuC+42+1], s[sgprAlpha:sgprAlpha+1], v[vgprValuC+42:vgprValuC+42+1] // *= alpha
	;; [unrolled: 1-line block ×10, first 2 shown]
s_waitcnt vmcnt(0)                                 // wait C (atomic)

/* issue first atomic writes */
v_mov_b32 v74, v76                                 // v_mov for reordering loaded data
v_mov_b32 v75, v77                                 // v_mov for reordering loaded data
v_add_f64 v[72:73], v[74:75], v[vgprValuC+40:vgprValuC+40+1] // desired value
_buffer_atomic_cmpswap_b64 v[72:75], v70, s[sgprSrdD:sgprSrdD+3] 0 offen offset:0 glc   // attempt write
v_add_f64 v[76:77], v[78:79], v[vgprValuC+42:vgprValuC+42+1] // desired value
_buffer_atomic_cmpswap_b64 v[76:79], v70, s[sgprSrdD:sgprSrdD+3] 0 offen offset:8 glc   // attempt write
v_mov_b32 v82, v84                                 // v_mov for reordering loaded data
v_mov_b32 v83, v85                                 // v_mov for reordering loaded data
v_add_f64 v[80:81], v[82:83], v[vgprValuC+44:vgprValuC+44+1] // desired value
_buffer_atomic_cmpswap_b64 v[80:83], v71, s[sgprSrdD:sgprSrdD+3] 0 offen offset:0 glc   // attempt write
v_add_f64 v[84:85], v[86:87], v[vgprValuC+46:vgprValuC+46+1] // desired value
_buffer_atomic_cmpswap_b64 v[84:87], v71, s[sgprSrdD:sgprSrdD+3] 0 offen offset:8 glc   // attempt write
v_mov_b32 v98, v100                                // v_mov for reordering loaded data
v_mov_b32 v99, v101                                // v_mov for reordering loaded data
v_add_f64 v[96:97], v[98:99], v[vgprValuC+48:vgprValuC+48+1] // desired value
_buffer_atomic_cmpswap_b64 v[96:99], v88, s[sgprSrdD:sgprSrdD+3] 0 offen offset:0 glc   // attempt write
v_add_f64 v[100:101], v[102:103], v[vgprValuC+50:vgprValuC+50+1] // desired value
_buffer_atomic_cmpswap_b64 v[100:103], v88, s[sgprSrdD:sgprSrdD+3] 0 offen offset:8 glc   // attempt write
v_mov_b32 v106, v108                               // v_mov for reordering loaded data
v_mov_b32 v107, v109                               // v_mov for reordering loaded data
v_add_f64 v[104:105], v[106:107], v[vgprValuC+52:vgprValuC+52+1] // desired value
_buffer_atomic_cmpswap_b64 v[104:107], v89, s[sgprSrdD:sgprSrdD+3] 0 offen offset:0 glc   // attempt write
v_add_f64 v[108:109], v[110:111], v[vgprValuC+54:vgprValuC+54+1] // desired value
_buffer_atomic_cmpswap_b64 v[108:111], v89, s[sgprSrdD:sgprSrdD+3] 0 offen offset:8 glc   // attempt write
v_mov_b32 v114, v116                               // v_mov for reordering loaded data
v_mov_b32 v115, v117                               // v_mov for reordering loaded data
v_add_f64 v[112:113], v[114:115], v[vgprValuC+56:vgprValuC+56+1] // desired value
_buffer_atomic_cmpswap_b64 v[112:115], v90, s[sgprSrdD:sgprSrdD+3] 0 offen offset:0 glc   // attempt write
v_add_f64 v[116:117], v[118:119], v[vgprValuC+58:vgprValuC+58+1] // desired value
_buffer_atomic_cmpswap_b64 v[116:119], v90, s[sgprSrdD:sgprSrdD+3] 0 offen offset:8 glc   // attempt write
s_waitcnt vmcnt(0)                                 // wait for atomic writes

/* check success of writes, update masks */
v_cmp_ne_u64 s[64:65], v[72:73], v[74:75]          // c read during atomic != c read during prior load
v_cmp_ne_u64 s[66:67], v[76:77], v[78:79]          // c read during atomic != c read during prior load
	;; [unrolled: 1-line block ×5, first 2 shown]
v_cmp_ne_u64 s[74:75], v[100:101], v[102:103]      // c read during atomic != c read during prior load
v_cmp_ne_u64 s[76:77], v[104:105], v[106:107]      // c read during atomic != c read during prior load
	;; [unrolled: 1-line block ×5, first 2 shown]

/* or masks to check for exit */
s_mov_b64 s[60:61], 0x0                            // empty mask
s_or_b64 s[60:61], s[64:65], s[60:61]              // or to add threads
s_or_b64 s[60:61], s[66:67], s[60:61]              // or to add threads
	;; [unrolled: 1-line block ×10, first 2 shown]
s_or_saveexec_b64 s[62:63], s[60:61]               // apply combined mask
s_cbranch_execz label_0035                         // if exec is zero skip loop

/* atomic CAS loop */
label_0034:

/* apply updated masks and issue writes again */
s_mov_b64 exec, s[64:65]                           // must try again
v_mov_b32 v74, v72                                 // dataV+2 = tmp (new original C)
v_mov_b32 v75, v73                                 // dataV+3 = tmp (new original C)
v_add_f64 v[72:73], v[74:75], v[vgprValuC+40:vgprValuC+40+1] // newC = rC + originalC
_buffer_atomic_cmpswap_b64 v[72:75], v70, s[sgprSrdD:sgprSrdD+3] 0 offen offset:0 glc   // attempt write
s_mov_b64 exec, s[66:67]                           // must try again
v_mov_b32 v78, v76                                 // dataV+2 = tmp (new original C)
v_mov_b32 v79, v77                                 // dataV+3 = tmp (new original C)
v_add_f64 v[76:77], v[78:79], v[vgprValuC+42:vgprValuC+42+1] // newC = rC + originalC
_buffer_atomic_cmpswap_b64 v[76:79], v70, s[sgprSrdD:sgprSrdD+3] 0 offen offset:8 glc   // attempt write
	;; [unrolled: 5-line block ×5, first 2 shown]
s_mov_b64 exec, s[74:75]                           // must try again
v_mov_b32 v102, v100                               // dataV+2 = tmp (new original C)
v_mov_b32 v103, v101                               // dataV+3 = tmp (new original C)
v_add_f64 v[100:101], v[102:103], v[vgprValuC+50:vgprValuC+50+1] // newC = rC + originalC
_buffer_atomic_cmpswap_b64 v[100:103], v88, s[sgprSrdD:sgprSrdD+3] 0 offen offset:8 glc   // attempt write
s_mov_b64 exec, s[76:77]                           // must try again
v_mov_b32 v106, v104                               // dataV+2 = tmp (new original C)
v_mov_b32 v107, v105                               // dataV+3 = tmp (new original C)
v_add_f64 v[104:105], v[106:107], v[vgprValuC+52:vgprValuC+52+1] // newC = rC + originalC
_buffer_atomic_cmpswap_b64 v[104:107], v89, s[sgprSrdD:sgprSrdD+3] 0 offen offset:0 glc   // attempt write
	;; [unrolled: 5-line block ×5, first 2 shown]
s_waitcnt vmcnt(0)                                 // wait for atomic writes

/* apply masks and check for success */
s_mov_b64 exec, s[64:65]                           // must try again
v_cmp_ne_u64 s[60:61], v[72:73], v[74:75]          // c read during atomic != c read during prior load
s_and_b64 s[64:65], s[60:61], s[64:65]             // inBounds & must try again
s_mov_b64 exec, s[66:67]                           // must try again
v_cmp_ne_u64 s[60:61], v[76:77], v[78:79]          // c read during atomic != c read during prior load
s_and_b64 s[66:67], s[60:61], s[66:67]             // inBounds & must try again
	;; [unrolled: 3-line block ×5, first 2 shown]
s_mov_b64 exec, s[74:75]                           // must try again
v_cmp_ne_u64 s[60:61], v[100:101], v[102:103]      // c read during atomic != c read during prior load
s_and_b64 s[74:75], s[60:61], s[74:75]             // inBounds & must try again
s_mov_b64 exec, s[76:77]                           // must try again
v_cmp_ne_u64 s[60:61], v[104:105], v[106:107]      // c read during atomic != c read during prior load
s_and_b64 s[76:77], s[60:61], s[76:77]             // inBounds & must try again
	;; [unrolled: 3-line block ×5, first 2 shown]

/* or masks to check for exit */
s_mov_b64 s[60:61], 0x0                            // empty mask
s_or_b64 s[60:61], s[64:65], s[60:61]              // or to add threads
s_or_b64 s[60:61], s[66:67], s[60:61]              // or to add threads
	;; [unrolled: 1-line block ×10, first 2 shown]
s_or_saveexec_b64 s[62:63], s[60:61]               // apply combined mask
s_cbranch_execnz label_0034                        // try again if not complete
label_0035:
s_mov_b64 exec, -1                                 // full mask -> exec
/* optSingleColVgpr=0 optSharedColVgpr=0 optSGPRUsage=None optSrdIncForRow=0 */

/******************************************/
/* Global Write Alpha Batch #3 (d1,d0,vc1,vc0) = */
/*    (3,1,1,0:vw2:vaw:1)                 */
/******************************************/

/* calc coords, apply mask, and issue loads (if necessary) */
/* (d1,vc1,d0,vc0)=(3,1,1,0) */
_v_add_co_u32 v68, vcc, v64, 64                    // coord0.1: coord0 += d0*sg0*VW + vc0
_v_add_lshl_u32 v70, v67, v68, 0x3                 // scaleToBpe: accumulate d0 lower and *= bpe into Cin addr
_buffer_load_b128 v[76:79], v70, s[sgprSrdD:sgprSrdD+3], 0, offen offset:0 // load D (atomic) bpm=16 vaw=1

/* rC *= alpha batchElements=[(3, 1, 1, 0)] */
v_mul_f64 v[vgprValuC+60:vgprValuC+60+1], s[sgprAlpha:sgprAlpha+1], v[vgprValuC+60:vgprValuC+60+1] // *= alpha
v_mul_f64 v[vgprValuC+62:vgprValuC+62+1], s[sgprAlpha:sgprAlpha+1], v[vgprValuC+62:vgprValuC+62+1] // *= alpha
s_waitcnt vmcnt(0)                                 // wait C (atomic)

/* issue first atomic writes */
v_mov_b32 v74, v76                                 // v_mov for reordering loaded data
v_mov_b32 v75, v77                                 // v_mov for reordering loaded data
v_add_f64 v[72:73], v[74:75], v[vgprValuC+60:vgprValuC+60+1] // desired value
_buffer_atomic_cmpswap_b64 v[72:75], v70, s[sgprSrdD:sgprSrdD+3] 0 offen offset:0 glc   // attempt write
v_add_f64 v[76:77], v[78:79], v[vgprValuC+62:vgprValuC+62+1] // desired value
_buffer_atomic_cmpswap_b64 v[76:79], v70, s[sgprSrdD:sgprSrdD+3] 0 offen offset:8 glc   // attempt write
s_waitcnt vmcnt(0)                                 // wait for atomic writes

/* check success of writes, update masks */
v_cmp_ne_u64 s[64:65], v[72:73], v[74:75]          // c read during atomic != c read during prior load
v_cmp_ne_u64 s[66:67], v[76:77], v[78:79]          // c read during atomic != c read during prior load

/* or masks to check for exit */
s_mov_b64 s[60:61], 0x0                            // empty mask
s_or_b64 s[60:61], s[64:65], s[60:61]              // or to add threads
s_or_b64 s[60:61], s[66:67], s[60:61]              // or to add threads
s_or_saveexec_b64 s[62:63], s[60:61]               // apply combined mask
s_cbranch_execz label_0037                         // if exec is zero skip loop

/* atomic CAS loop */
label_0036:

/* apply updated masks and issue writes again */
s_mov_b64 exec, s[64:65]                           // must try again
v_mov_b32 v74, v72                                 // dataV+2 = tmp (new original C)
v_mov_b32 v75, v73                                 // dataV+3 = tmp (new original C)
v_add_f64 v[72:73], v[74:75], v[vgprValuC+60:vgprValuC+60+1] // newC = rC + originalC
_buffer_atomic_cmpswap_b64 v[72:75], v70, s[sgprSrdD:sgprSrdD+3] 0 offen offset:0 glc   // attempt write
s_mov_b64 exec, s[66:67]                           // must try again
v_mov_b32 v78, v76                                 // dataV+2 = tmp (new original C)
v_mov_b32 v79, v77                                 // dataV+3 = tmp (new original C)
v_add_f64 v[76:77], v[78:79], v[vgprValuC+62:vgprValuC+62+1] // newC = rC + originalC
_buffer_atomic_cmpswap_b64 v[76:79], v70, s[sgprSrdD:sgprSrdD+3] 0 offen offset:8 glc   // attempt write
s_waitcnt vmcnt(0)                                 // wait for atomic writes

/* apply masks and check for success */
s_mov_b64 exec, s[64:65]                           // must try again
v_cmp_ne_u64 s[60:61], v[72:73], v[74:75]          // c read during atomic != c read during prior load
s_and_b64 s[64:65], s[60:61], s[64:65]             // inBounds & must try again
s_mov_b64 exec, s[66:67]                           // must try again
v_cmp_ne_u64 s[60:61], v[76:77], v[78:79]          // c read during atomic != c read during prior load
s_and_b64 s[66:67], s[60:61], s[66:67]             // inBounds & must try again

/* or masks to check for exit */
s_mov_b64 s[60:61], 0x0                            // empty mask
s_or_b64 s[60:61], s[64:65], s[60:61]              // or to add threads
s_or_b64 s[60:61], s[66:67], s[60:61]              // or to add threads
s_or_saveexec_b64 s[62:63], s[60:61]               // apply combined mask
s_cbranch_execnz label_0036                        // try again if not complete
label_0037:
s_mov_b64 exec, -1                                 // full mask -> exec
s_branch label_GW_End_25                           // jump to end
GW_B0_E1_23:

/* edge=1, allocate 24 sgpr. perBatchTmpS=4 perBatchMaskS=0 perElementMaskS=2 elementsPerBatch=10 */
/* optSingleColVgpr=0 optSharedColVgpr=0 optSGPRUsage=None optSrdIncForRow=0 */

/******************************************/
/* Global Write Alpha Edge Batch #0 (d1,d0,vc1,vc0) = */
/*    (0,0,0,0:vw1:vaw:1); (0,0,0,1:vw1:vaw:1); (0,1,0,0:vw1:vaw:1); (0,1,0,1:vw1:vaw:1); (0,0,1,0:vw1:vaw:1); (0,0,1,1:vw1:vaw:1); (0,1,1,0:vw1:vaw:1); (0,1,1,1:vw1:vaw:1); (1,0,0,0:vw1:vaw:1); (1,0,0,1:vw1:vaw:1) */
/******************************************/

/* calc coords, apply mask, and issue loads (if necessary) */
/* (d1,vc1,d0,vc0)=(0,0,0,0) */
v_cmp_lt_u32 s[60:61], v64, s[sgprSizeI]           // coord0 < size0
v_cmp_lt_u32 s[64:65], v65, s[sgprSizeJ]           // coord1 < size1
s_and_b64 s[64:65], s[60:61], s[64:65]             // in0 && in1
_v_add_lshl_u32 v70, v67, v64, 0x3                 // scaleToBpe: accumulate d0 lower and *= bpe into Cin addr
v_cndmask_b32 v70, -1, v70, s[64:65]               // LDD clip if OOB. offset
_buffer_load_b64 v[74:75], v70, s[sgprSrdD:sgprSrdD+3], 0, offen offset:0 // load D (atomic) bpm=8 vaw=1
/* (d1,vc1,d0,vc0)=(0,0,0,1) */
_v_add_co_u32 v68, vcc, v64, 1                     // coord0.1: coord0 += d0*sg0*VW + vc0
v_cmp_lt_u32 s[60:61], v68, s[sgprSizeI]           // coord0 < size0
v_cmp_lt_u32 s[66:67], v65, s[sgprSizeJ]           // coord1 < size1
s_and_b64 s[66:67], s[60:61], s[66:67]             // in0 && in1
_v_add_lshl_u32 v71, v67, v68, 0x3                 // scaleToBpe: accumulate d0 lower and *= bpe into Cin addr
v_cndmask_b32 v71, -1, v71, s[66:67]               // LDD clip if OOB. offset
_buffer_load_b64 v[78:79], v71, s[sgprSrdD:sgprSrdD+3], 0, offen offset:0 // load D (atomic) bpm=8 vaw=1
/* (d1,vc1,d0,vc0)=(0,0,1,0) */
_v_add_co_u32 v68, vcc, v64, 64                    // coord0.1: coord0 += d0*sg0*VW + vc0
v_cmp_lt_u32 s[60:61], v68, s[sgprSizeI]           // coord0 < size0
v_cmp_lt_u32 s[68:69], v65, s[sgprSizeJ]           // coord1 < size1
s_and_b64 s[68:69], s[60:61], s[68:69]             // in0 && in1
_v_add_lshl_u32 v80, v67, v68, 0x3                 // scaleToBpe: accumulate d0 lower and *= bpe into Cin addr
v_cndmask_b32 v80, -1, v80, s[68:69]               // LDD clip if OOB. offset
_buffer_load_b64 v[86:87], v80, s[sgprSrdD:sgprSrdD+3], 0, offen offset:0 // load D (atomic) bpm=8 vaw=1
/* (d1,vc1,d0,vc0)=(0,0,1,1) */
s_mov_b32 s60, 65                                  // coordOffset0 d0=1 vc0=1
_v_add_co_u32 v68, vcc, v64, s60                   // coord0.2: coord0 += d0*sg0*VW + vc0
v_cmp_lt_u32 s[60:61], v68, s[sgprSizeI]           // coord0 < size0
v_cmp_lt_u32 s[70:71], v65, s[sgprSizeJ]           // coord1 < size1
s_and_b64 s[70:71], s[60:61], s[70:71]             // in0 && in1
_v_add_lshl_u32 v81, v67, v68, 0x3                 // scaleToBpe: accumulate d0 lower and *= bpe into Cin addr
v_cndmask_b32 v81, -1, v81, s[70:71]               // LDD clip if OOB. offset
_buffer_load_b64 v[90:91], v81, s[sgprSrdD:sgprSrdD+3], 0, offen offset:0 // load D (atomic) bpm=8 vaw=1
/* (d1,vc1,d0,vc0)=(0,1,0,0) */
_v_add_co_u32 v65, vcc, v65, 1                     // coord1.1: coord1Vgpr += d1*sg1*VW + vc1

/* Fix for UseInitialStridesCD, emitAddressSetupCode */
_v_add_u32 v66, v66, s[sgprStrideC1J]              // ROWINC- Move cinRowPtr to next row
_v_add_u32 v67, v67, s[sgprStrideD1J]              // Move coutRowPtr to next row
v_cmp_lt_u32 s[60:61], v64, s[sgprSizeI]           // coord0 < size0
v_cmp_lt_u32 s[72:73], v65, s[sgprSizeJ]           // coord1 < size1
s_and_b64 s[72:73], s[60:61], s[72:73]             // in0 && in1
_v_add_lshl_u32 v82, v67, v64, 0x3                 // scaleToBpe: accumulate d0 lower and *= bpe into Cin addr
v_cndmask_b32 v82, -1, v82, s[72:73]               // LDD clip if OOB. offset
_buffer_load_b64 v[94:95], v82, s[sgprSrdD:sgprSrdD+3], 0, offen offset:0 // load D (atomic) bpm=8 vaw=1
/* (d1,vc1,d0,vc0)=(0,1,0,1) */
_v_add_co_u32 v68, vcc, v64, 1                     // coord0.1: coord0 += d0*sg0*VW + vc0
v_cmp_lt_u32 s[60:61], v68, s[sgprSizeI]           // coord0 < size0
v_cmp_lt_u32 s[74:75], v65, s[sgprSizeJ]           // coord1 < size1
s_and_b64 s[74:75], s[60:61], s[74:75]             // in0 && in1
_v_add_lshl_u32 v83, v67, v68, 0x3                 // scaleToBpe: accumulate d0 lower and *= bpe into Cin addr
v_cndmask_b32 v83, -1, v83, s[74:75]               // LDD clip if OOB. offset
_buffer_load_b64 v[98:99], v83, s[sgprSrdD:sgprSrdD+3], 0, offen offset:0 // load D (atomic) bpm=8 vaw=1
/* (d1,vc1,d0,vc0)=(0,1,1,0) */
_v_add_co_u32 v68, vcc, v64, 64                    // coord0.1: coord0 += d0*sg0*VW + vc0
v_cmp_lt_u32 s[60:61], v68, s[sgprSizeI]           // coord0 < size0
v_cmp_lt_u32 s[76:77], v65, s[sgprSizeJ]           // coord1 < size1
s_and_b64 s[76:77], s[60:61], s[76:77]             // in0 && in1
_v_add_lshl_u32 v100, v67, v68, 0x3                // scaleToBpe: accumulate d0 lower and *= bpe into Cin addr
v_cndmask_b32 v100, -1, v100, s[76:77]             // LDD clip if OOB. offset
_buffer_load_b64 v[106:107], v100, s[sgprSrdD:sgprSrdD+3], 0, offen offset:0 // load D (atomic) bpm=8 vaw=1
/* (d1,vc1,d0,vc0)=(0,1,1,1) */
s_mov_b32 s60, 65                                  // coordOffset0 d0=1 vc0=1
_v_add_co_u32 v68, vcc, v64, s60                   // coord0.2: coord0 += d0*sg0*VW + vc0
v_cmp_lt_u32 s[60:61], v68, s[sgprSizeI]           // coord0 < size0
v_cmp_lt_u32 s[78:79], v65, s[sgprSizeJ]           // coord1 < size1
s_and_b64 s[78:79], s[60:61], s[78:79]             // in0 && in1
_v_add_lshl_u32 v101, v67, v68, 0x3                // scaleToBpe: accumulate d0 lower and *= bpe into Cin addr
v_cndmask_b32 v101, -1, v101, s[78:79]             // LDD clip if OOB. offset
_buffer_load_b64 v[110:111], v101, s[sgprSrdD:sgprSrdD+3], 0, offen offset:0 // load D (atomic) bpm=8 vaw=1
/* (d1,vc1,d0,vc0)=(1,0,0,0) */
_v_add_co_u32 v65, vcc, v65, 31                    // coord1.1: coord1Vgpr += d1*sg1*VW + vc1

/* Fix for UseInitialStridesCD, emitAddressSetupCode */
s_mul_i32 s60, s[sgprStrideC1J], 31                // scale stride
_v_add_u32 v66, v66, s60                           // ROWINC- Move cinRowPtr to next row
s_mul_i32 s60, s[sgprStrideD1J], 31                // scale stride
_v_add_u32 v67, v67, s60                           // Move coutRowPtr to next row
v_cmp_lt_u32 s[60:61], v64, s[sgprSizeI]           // coord0 < size0
v_cmp_lt_u32 s[80:81], v65, s[sgprSizeJ]           // coord1 < size1
s_and_b64 s[80:81], s[60:61], s[80:81]             // in0 && in1
_v_add_lshl_u32 v102, v67, v64, 0x3                // scaleToBpe: accumulate d0 lower and *= bpe into Cin addr
v_cndmask_b32 v102, -1, v102, s[80:81]             // LDD clip if OOB. offset
_buffer_load_b64 v[114:115], v102, s[sgprSrdD:sgprSrdD+3], 0, offen offset:0 // load D (atomic) bpm=8 vaw=1
/* (d1,vc1,d0,vc0)=(1,0,0,1) */
_v_add_co_u32 v68, vcc, v64, 1                     // coord0.1: coord0 += d0*sg0*VW + vc0
v_cmp_lt_u32 s[60:61], v68, s[sgprSizeI]           // coord0 < size0
v_cmp_lt_u32 s[82:83], v65, s[sgprSizeJ]           // coord1 < size1
s_and_b64 s[82:83], s[60:61], s[82:83]             // in0 && in1
_v_add_lshl_u32 v103, v67, v68, 0x3                // scaleToBpe: accumulate d0 lower and *= bpe into Cin addr
v_cndmask_b32 v103, -1, v103, s[82:83]             // LDD clip if OOB. offset
_buffer_load_b64 v[118:119], v103, s[sgprSrdD:sgprSrdD+3], 0, offen offset:0 // load D (atomic) bpm=8 vaw=1

/* rC *= alpha batchElements=[(0, 0, 0, 0), (0, 0, 0, 1), (0, 1, 0, 0), (0, 1, 0, 1), (0, 0, 1, 0), (0, 0, 1, 1), (0, 1, 1, 0), (0, 1, 1, 1), (1, 0, 0, 0), (1, 0, 0, 1)] */
v_mul_f64 v[vgprValuC+0:vgprValuC+0+1], s[sgprAlpha:sgprAlpha+1], v[vgprValuC+0:vgprValuC+0+1] // *= alpha
v_mul_f64 v[vgprValuC+2:vgprValuC+2+1], s[sgprAlpha:sgprAlpha+1], v[vgprValuC+2:vgprValuC+2+1] // *= alpha
	;; [unrolled: 1-line block ×10, first 2 shown]
s_waitcnt vmcnt(0)                                 // wait C (atomic)

/* issue first atomic writes */
s_mov_b64 exec, s[64:65]                           // sgprs -> exec (before atomic)
v_add_f64 v[72:73], v[74:75], v[vgprValuC+0:vgprValuC+0+1] // desired value
_buffer_atomic_cmpswap_b64 v[72:75], v70, s[sgprSrdD:sgprSrdD+3] 0 offen offset:0 glc   // attempt write
s_mov_b64 exec, s[66:67]                           // sgprs -> exec (before atomic)
v_add_f64 v[76:77], v[78:79], v[vgprValuC+2:vgprValuC+2+1] // desired value
_buffer_atomic_cmpswap_b64 v[76:79], v71, s[sgprSrdD:sgprSrdD+3] 0 offen offset:0 glc   // attempt write
	;; [unrolled: 3-line block ×10, first 2 shown]
s_waitcnt vmcnt(0)                                 // wait for atomic writes

/* check success of writes, update masks */
s_mov_b64 exec, s[64:65]                           // sgprs -> exec
v_cmp_ne_u64 s[60:61], v[72:73], v[74:75]          // c read during atomic != c read during prior load
s_and_b64 s[64:65], s[60:61], s[64:65]             // inBounds & must try again
s_mov_b64 exec, s[66:67]                           // sgprs -> exec
v_cmp_ne_u64 s[60:61], v[76:77], v[78:79]          // c read during atomic != c read during prior load
s_and_b64 s[66:67], s[60:61], s[66:67]             // inBounds & must try again
	;; [unrolled: 3-line block ×6, first 2 shown]
s_mov_b64 exec, s[76:77]                           // sgprs -> exec
v_cmp_ne_u64 s[60:61], v[104:105], v[106:107]      // c read during atomic != c read during prior load
s_and_b64 s[76:77], s[60:61], s[76:77]             // inBounds & must try again
s_mov_b64 exec, s[78:79]                           // sgprs -> exec
v_cmp_ne_u64 s[60:61], v[108:109], v[110:111]      // c read during atomic != c read during prior load
s_and_b64 s[78:79], s[60:61], s[78:79]             // inBounds & must try again
	;; [unrolled: 3-line block ×4, first 2 shown]

/* or masks to check for exit */
s_mov_b64 s[60:61], 0x0                            // empty mask
s_or_b64 s[60:61], s[64:65], s[60:61]              // or to add threads
s_or_b64 s[60:61], s[66:67], s[60:61]              // or to add threads
	;; [unrolled: 1-line block ×10, first 2 shown]
s_or_saveexec_b64 s[62:63], s[60:61]               // apply combined mask
s_cbranch_execz label_0039                         // if exec is zero skip loop

/* atomic CAS loop */
label_0038:

/* apply updated masks and issue writes again */
s_mov_b64 exec, s[64:65]                           // must try again
v_mov_b32 v74, v72                                 // dataV+2 = tmp (new original C)
v_mov_b32 v75, v73                                 // dataV+3 = tmp (new original C)
v_add_f64 v[72:73], v[74:75], v[vgprValuC+0:vgprValuC+0+1] // newC = rC + originalC
_buffer_atomic_cmpswap_b64 v[72:75], v70, s[sgprSrdD:sgprSrdD+3] 0 offen offset:0 glc   // attempt write
s_mov_b64 exec, s[66:67]                           // must try again
v_mov_b32 v78, v76                                 // dataV+2 = tmp (new original C)
v_mov_b32 v79, v77                                 // dataV+3 = tmp (new original C)
v_add_f64 v[76:77], v[78:79], v[vgprValuC+2:vgprValuC+2+1] // newC = rC + originalC
_buffer_atomic_cmpswap_b64 v[76:79], v71, s[sgprSrdD:sgprSrdD+3] 0 offen offset:0 glc   // attempt write
	;; [unrolled: 5-line block ×6, first 2 shown]
s_mov_b64 exec, s[76:77]                           // must try again
v_mov_b32 v106, v104                               // dataV+2 = tmp (new original C)
v_mov_b32 v107, v105                               // dataV+3 = tmp (new original C)
v_add_f64 v[104:105], v[106:107], v[vgprValuC+12:vgprValuC+12+1] // newC = rC + originalC
_buffer_atomic_cmpswap_b64 v[104:107], v100, s[sgprSrdD:sgprSrdD+3] 0 offen offset:0 glc   // attempt write
s_mov_b64 exec, s[78:79]                           // must try again
v_mov_b32 v110, v108                               // dataV+2 = tmp (new original C)
v_mov_b32 v111, v109                               // dataV+3 = tmp (new original C)
v_add_f64 v[108:109], v[110:111], v[vgprValuC+14:vgprValuC+14+1] // newC = rC + originalC
_buffer_atomic_cmpswap_b64 v[108:111], v101, s[sgprSrdD:sgprSrdD+3] 0 offen offset:0 glc   // attempt write
	;; [unrolled: 5-line block ×4, first 2 shown]
s_waitcnt vmcnt(0)                                 // wait for atomic writes

/* apply masks and check for success */
s_mov_b64 exec, s[64:65]                           // must try again
v_cmp_ne_u64 s[60:61], v[72:73], v[74:75]          // c read during atomic != c read during prior load
s_and_b64 s[64:65], s[60:61], s[64:65]             // inBounds & must try again
s_mov_b64 exec, s[66:67]                           // must try again
v_cmp_ne_u64 s[60:61], v[76:77], v[78:79]          // c read during atomic != c read during prior load
s_and_b64 s[66:67], s[60:61], s[66:67]             // inBounds & must try again
	;; [unrolled: 3-line block ×6, first 2 shown]
s_mov_b64 exec, s[76:77]                           // must try again
v_cmp_ne_u64 s[60:61], v[104:105], v[106:107]      // c read during atomic != c read during prior load
s_and_b64 s[76:77], s[60:61], s[76:77]             // inBounds & must try again
s_mov_b64 exec, s[78:79]                           // must try again
v_cmp_ne_u64 s[60:61], v[108:109], v[110:111]      // c read during atomic != c read during prior load
s_and_b64 s[78:79], s[60:61], s[78:79]             // inBounds & must try again
	;; [unrolled: 3-line block ×4, first 2 shown]

/* or masks to check for exit */
s_mov_b64 s[60:61], 0x0                            // empty mask
s_or_b64 s[60:61], s[64:65], s[60:61]              // or to add threads
s_or_b64 s[60:61], s[66:67], s[60:61]              // or to add threads
	;; [unrolled: 1-line block ×10, first 2 shown]
s_or_saveexec_b64 s[62:63], s[60:61]               // apply combined mask
s_cbranch_execnz label_0038                        // try again if not complete
label_0039:
s_mov_b64 exec, -1                                 // full mask -> exec
/* optSingleColVgpr=0 optSharedColVgpr=0 optSGPRUsage=None optSrdIncForRow=0 */

/******************************************/
/* Global Write Alpha Edge Batch #1 (d1,d0,vc1,vc0) = */
/*    (1,1,0,0:vw1:vaw:1); (1,1,0,1:vw1:vaw:1); (1,0,1,0:vw1:vaw:1); (1,0,1,1:vw1:vaw:1); (1,1,1,0:vw1:vaw:1); (1,1,1,1:vw1:vaw:1); (2,0,0,0:vw1:vaw:1); (2,0,0,1:vw1:vaw:1); (2,1,0,0:vw1:vaw:1); (2,1,0,1:vw1:vaw:1) */
/******************************************/

/* calc coords, apply mask, and issue loads (if necessary) */
/* (d1,vc1,d0,vc0)=(1,0,1,0) */
_v_add_co_u32 v68, vcc, v64, 64                    // coord0.1: coord0 += d0*sg0*VW + vc0
v_cmp_lt_u32 s[60:61], v68, s[sgprSizeI]           // coord0 < size0
v_cmp_lt_u32 s[64:65], v65, s[sgprSizeJ]           // coord1 < size1
s_and_b64 s[64:65], s[60:61], s[64:65]             // in0 && in1
_v_add_lshl_u32 v70, v67, v68, 0x3                 // scaleToBpe: accumulate d0 lower and *= bpe into Cin addr
v_cndmask_b32 v70, -1, v70, s[64:65]               // LDD clip if OOB. offset
_buffer_load_b64 v[74:75], v70, s[sgprSrdD:sgprSrdD+3], 0, offen offset:0 // load D (atomic) bpm=8 vaw=1
/* (d1,vc1,d0,vc0)=(1,0,1,1) */
s_mov_b32 s60, 65                                  // coordOffset0 d0=1 vc0=1
_v_add_co_u32 v68, vcc, v64, s60                   // coord0.2: coord0 += d0*sg0*VW + vc0
v_cmp_lt_u32 s[60:61], v68, s[sgprSizeI]           // coord0 < size0
v_cmp_lt_u32 s[66:67], v65, s[sgprSizeJ]           // coord1 < size1
s_and_b64 s[66:67], s[60:61], s[66:67]             // in0 && in1
_v_add_lshl_u32 v71, v67, v68, 0x3                 // scaleToBpe: accumulate d0 lower and *= bpe into Cin addr
v_cndmask_b32 v71, -1, v71, s[66:67]               // LDD clip if OOB. offset
_buffer_load_b64 v[78:79], v71, s[sgprSrdD:sgprSrdD+3], 0, offen offset:0 // load D (atomic) bpm=8 vaw=1
/* (d1,vc1,d0,vc0)=(1,1,0,0) */
_v_add_co_u32 v65, vcc, v65, 1                     // coord1.1: coord1Vgpr += d1*sg1*VW + vc1

/* Fix for UseInitialStridesCD, emitAddressSetupCode */
_v_add_u32 v66, v66, s[sgprStrideC1J]              // ROWINC- Move cinRowPtr to next row
_v_add_u32 v67, v67, s[sgprStrideD1J]              // Move coutRowPtr to next row
v_cmp_lt_u32 s[60:61], v64, s[sgprSizeI]           // coord0 < size0
v_cmp_lt_u32 s[68:69], v65, s[sgprSizeJ]           // coord1 < size1
s_and_b64 s[68:69], s[60:61], s[68:69]             // in0 && in1
_v_add_lshl_u32 v80, v67, v64, 0x3                 // scaleToBpe: accumulate d0 lower and *= bpe into Cin addr
v_cndmask_b32 v80, -1, v80, s[68:69]               // LDD clip if OOB. offset
_buffer_load_b64 v[86:87], v80, s[sgprSrdD:sgprSrdD+3], 0, offen offset:0 // load D (atomic) bpm=8 vaw=1
/* (d1,vc1,d0,vc0)=(1,1,0,1) */
_v_add_co_u32 v68, vcc, v64, 1                     // coord0.1: coord0 += d0*sg0*VW + vc0
v_cmp_lt_u32 s[60:61], v68, s[sgprSizeI]           // coord0 < size0
v_cmp_lt_u32 s[70:71], v65, s[sgprSizeJ]           // coord1 < size1
s_and_b64 s[70:71], s[60:61], s[70:71]             // in0 && in1
_v_add_lshl_u32 v81, v67, v68, 0x3                 // scaleToBpe: accumulate d0 lower and *= bpe into Cin addr
v_cndmask_b32 v81, -1, v81, s[70:71]               // LDD clip if OOB. offset
_buffer_load_b64 v[90:91], v81, s[sgprSrdD:sgprSrdD+3], 0, offen offset:0 // load D (atomic) bpm=8 vaw=1
/* (d1,vc1,d0,vc0)=(1,1,1,0) */
_v_add_co_u32 v68, vcc, v64, 64                    // coord0.1: coord0 += d0*sg0*VW + vc0
v_cmp_lt_u32 s[60:61], v68, s[sgprSizeI]           // coord0 < size0
v_cmp_lt_u32 s[72:73], v65, s[sgprSizeJ]           // coord1 < size1
s_and_b64 s[72:73], s[60:61], s[72:73]             // in0 && in1
_v_add_lshl_u32 v82, v67, v68, 0x3                 // scaleToBpe: accumulate d0 lower and *= bpe into Cin addr
v_cndmask_b32 v82, -1, v82, s[72:73]               // LDD clip if OOB. offset
_buffer_load_b64 v[94:95], v82, s[sgprSrdD:sgprSrdD+3], 0, offen offset:0 // load D (atomic) bpm=8 vaw=1
/* (d1,vc1,d0,vc0)=(1,1,1,1) */
s_mov_b32 s60, 65                                  // coordOffset0 d0=1 vc0=1
_v_add_co_u32 v68, vcc, v64, s60                   // coord0.2: coord0 += d0*sg0*VW + vc0
v_cmp_lt_u32 s[60:61], v68, s[sgprSizeI]           // coord0 < size0
v_cmp_lt_u32 s[74:75], v65, s[sgprSizeJ]           // coord1 < size1
s_and_b64 s[74:75], s[60:61], s[74:75]             // in0 && in1
_v_add_lshl_u32 v83, v67, v68, 0x3                 // scaleToBpe: accumulate d0 lower and *= bpe into Cin addr
v_cndmask_b32 v83, -1, v83, s[74:75]               // LDD clip if OOB. offset
_buffer_load_b64 v[98:99], v83, s[sgprSrdD:sgprSrdD+3], 0, offen offset:0 // load D (atomic) bpm=8 vaw=1
/* (d1,vc1,d0,vc0)=(2,0,0,0) */
_v_add_co_u32 v65, vcc, v65, 31                    // coord1.1: coord1Vgpr += d1*sg1*VW + vc1

/* Fix for UseInitialStridesCD, emitAddressSetupCode */
s_mul_i32 s60, s[sgprStrideC1J], 31                // scale stride
_v_add_u32 v66, v66, s60                           // ROWINC- Move cinRowPtr to next row
s_mul_i32 s60, s[sgprStrideD1J], 31                // scale stride
_v_add_u32 v67, v67, s60                           // Move coutRowPtr to next row
v_cmp_lt_u32 s[60:61], v64, s[sgprSizeI]           // coord0 < size0
v_cmp_lt_u32 s[76:77], v65, s[sgprSizeJ]           // coord1 < size1
s_and_b64 s[76:77], s[60:61], s[76:77]             // in0 && in1
_v_add_lshl_u32 v100, v67, v64, 0x3                // scaleToBpe: accumulate d0 lower and *= bpe into Cin addr
v_cndmask_b32 v100, -1, v100, s[76:77]             // LDD clip if OOB. offset
_buffer_load_b64 v[106:107], v100, s[sgprSrdD:sgprSrdD+3], 0, offen offset:0 // load D (atomic) bpm=8 vaw=1
/* (d1,vc1,d0,vc0)=(2,0,0,1) */
_v_add_co_u32 v68, vcc, v64, 1                     // coord0.1: coord0 += d0*sg0*VW + vc0
v_cmp_lt_u32 s[60:61], v68, s[sgprSizeI]           // coord0 < size0
v_cmp_lt_u32 s[78:79], v65, s[sgprSizeJ]           // coord1 < size1
s_and_b64 s[78:79], s[60:61], s[78:79]             // in0 && in1
_v_add_lshl_u32 v101, v67, v68, 0x3                // scaleToBpe: accumulate d0 lower and *= bpe into Cin addr
v_cndmask_b32 v101, -1, v101, s[78:79]             // LDD clip if OOB. offset
_buffer_load_b64 v[110:111], v101, s[sgprSrdD:sgprSrdD+3], 0, offen offset:0 // load D (atomic) bpm=8 vaw=1
/* (d1,vc1,d0,vc0)=(2,0,1,0) */
_v_add_co_u32 v68, vcc, v64, 64                    // coord0.1: coord0 += d0*sg0*VW + vc0
v_cmp_lt_u32 s[60:61], v68, s[sgprSizeI]           // coord0 < size0
v_cmp_lt_u32 s[80:81], v65, s[sgprSizeJ]           // coord1 < size1
s_and_b64 s[80:81], s[60:61], s[80:81]             // in0 && in1
_v_add_lshl_u32 v102, v67, v68, 0x3                // scaleToBpe: accumulate d0 lower and *= bpe into Cin addr
v_cndmask_b32 v102, -1, v102, s[80:81]             // LDD clip if OOB. offset
_buffer_load_b64 v[114:115], v102, s[sgprSrdD:sgprSrdD+3], 0, offen offset:0 // load D (atomic) bpm=8 vaw=1
/* (d1,vc1,d0,vc0)=(2,0,1,1) */
s_mov_b32 s60, 65                                  // coordOffset0 d0=1 vc0=1
_v_add_co_u32 v68, vcc, v64, s60                   // coord0.2: coord0 += d0*sg0*VW + vc0
v_cmp_lt_u32 s[60:61], v68, s[sgprSizeI]           // coord0 < size0
v_cmp_lt_u32 s[82:83], v65, s[sgprSizeJ]           // coord1 < size1
s_and_b64 s[82:83], s[60:61], s[82:83]             // in0 && in1
_v_add_lshl_u32 v103, v67, v68, 0x3                // scaleToBpe: accumulate d0 lower and *= bpe into Cin addr
v_cndmask_b32 v103, -1, v103, s[82:83]             // LDD clip if OOB. offset
_buffer_load_b64 v[118:119], v103, s[sgprSrdD:sgprSrdD+3], 0, offen offset:0 // load D (atomic) bpm=8 vaw=1

/* rC *= alpha batchElements=[(1, 1, 0, 0), (1, 1, 0, 1), (1, 0, 1, 0), (1, 0, 1, 1), (1, 1, 1, 0), (1, 1, 1, 1), (2, 0, 0, 0), (2, 0, 0, 1), (2, 1, 0, 0), (2, 1, 0, 1)] */
v_mul_f64 v[vgprValuC+20:vgprValuC+20+1], s[sgprAlpha:sgprAlpha+1], v[vgprValuC+20:vgprValuC+20+1] // *= alpha
v_mul_f64 v[vgprValuC+22:vgprValuC+22+1], s[sgprAlpha:sgprAlpha+1], v[vgprValuC+22:vgprValuC+22+1] // *= alpha
	;; [unrolled: 1-line block ×10, first 2 shown]
s_waitcnt vmcnt(0)                                 // wait C (atomic)

/* issue first atomic writes */
s_mov_b64 exec, s[64:65]                           // sgprs -> exec (before atomic)
v_add_f64 v[72:73], v[74:75], v[vgprValuC+20:vgprValuC+20+1] // desired value
_buffer_atomic_cmpswap_b64 v[72:75], v70, s[sgprSrdD:sgprSrdD+3] 0 offen offset:0 glc   // attempt write
s_mov_b64 exec, s[66:67]                           // sgprs -> exec (before atomic)
v_add_f64 v[76:77], v[78:79], v[vgprValuC+22:vgprValuC+22+1] // desired value
_buffer_atomic_cmpswap_b64 v[76:79], v71, s[sgprSrdD:sgprSrdD+3] 0 offen offset:0 glc   // attempt write
	;; [unrolled: 3-line block ×10, first 2 shown]
s_waitcnt vmcnt(0)                                 // wait for atomic writes

/* check success of writes, update masks */
s_mov_b64 exec, s[64:65]                           // sgprs -> exec
v_cmp_ne_u64 s[60:61], v[72:73], v[74:75]          // c read during atomic != c read during prior load
s_and_b64 s[64:65], s[60:61], s[64:65]             // inBounds & must try again
s_mov_b64 exec, s[66:67]                           // sgprs -> exec
v_cmp_ne_u64 s[60:61], v[76:77], v[78:79]          // c read during atomic != c read during prior load
s_and_b64 s[66:67], s[60:61], s[66:67]             // inBounds & must try again
	;; [unrolled: 3-line block ×6, first 2 shown]
s_mov_b64 exec, s[76:77]                           // sgprs -> exec
v_cmp_ne_u64 s[60:61], v[104:105], v[106:107]      // c read during atomic != c read during prior load
s_and_b64 s[76:77], s[60:61], s[76:77]             // inBounds & must try again
s_mov_b64 exec, s[78:79]                           // sgprs -> exec
v_cmp_ne_u64 s[60:61], v[108:109], v[110:111]      // c read during atomic != c read during prior load
s_and_b64 s[78:79], s[60:61], s[78:79]             // inBounds & must try again
	;; [unrolled: 3-line block ×4, first 2 shown]

/* or masks to check for exit */
s_mov_b64 s[60:61], 0x0                            // empty mask
s_or_b64 s[60:61], s[64:65], s[60:61]              // or to add threads
s_or_b64 s[60:61], s[66:67], s[60:61]              // or to add threads
	;; [unrolled: 1-line block ×10, first 2 shown]
s_or_saveexec_b64 s[62:63], s[60:61]               // apply combined mask
s_cbranch_execz label_0041                         // if exec is zero skip loop

/* atomic CAS loop */
label_0040:

/* apply updated masks and issue writes again */
s_mov_b64 exec, s[64:65]                           // must try again
v_mov_b32 v74, v72                                 // dataV+2 = tmp (new original C)
v_mov_b32 v75, v73                                 // dataV+3 = tmp (new original C)
v_add_f64 v[72:73], v[74:75], v[vgprValuC+20:vgprValuC+20+1] // newC = rC + originalC
_buffer_atomic_cmpswap_b64 v[72:75], v70, s[sgprSrdD:sgprSrdD+3] 0 offen offset:0 glc   // attempt write
s_mov_b64 exec, s[66:67]                           // must try again
v_mov_b32 v78, v76                                 // dataV+2 = tmp (new original C)
v_mov_b32 v79, v77                                 // dataV+3 = tmp (new original C)
v_add_f64 v[76:77], v[78:79], v[vgprValuC+22:vgprValuC+22+1] // newC = rC + originalC
_buffer_atomic_cmpswap_b64 v[76:79], v71, s[sgprSrdD:sgprSrdD+3] 0 offen offset:0 glc   // attempt write
	;; [unrolled: 5-line block ×6, first 2 shown]
s_mov_b64 exec, s[76:77]                           // must try again
v_mov_b32 v106, v104                               // dataV+2 = tmp (new original C)
v_mov_b32 v107, v105                               // dataV+3 = tmp (new original C)
v_add_f64 v[104:105], v[106:107], v[vgprValuC+32:vgprValuC+32+1] // newC = rC + originalC
_buffer_atomic_cmpswap_b64 v[104:107], v100, s[sgprSrdD:sgprSrdD+3] 0 offen offset:0 glc   // attempt write
s_mov_b64 exec, s[78:79]                           // must try again
v_mov_b32 v110, v108                               // dataV+2 = tmp (new original C)
v_mov_b32 v111, v109                               // dataV+3 = tmp (new original C)
v_add_f64 v[108:109], v[110:111], v[vgprValuC+34:vgprValuC+34+1] // newC = rC + originalC
_buffer_atomic_cmpswap_b64 v[108:111], v101, s[sgprSrdD:sgprSrdD+3] 0 offen offset:0 glc   // attempt write
	;; [unrolled: 5-line block ×4, first 2 shown]
s_waitcnt vmcnt(0)                                 // wait for atomic writes

/* apply masks and check for success */
s_mov_b64 exec, s[64:65]                           // must try again
v_cmp_ne_u64 s[60:61], v[72:73], v[74:75]          // c read during atomic != c read during prior load
s_and_b64 s[64:65], s[60:61], s[64:65]             // inBounds & must try again
s_mov_b64 exec, s[66:67]                           // must try again
v_cmp_ne_u64 s[60:61], v[76:77], v[78:79]          // c read during atomic != c read during prior load
s_and_b64 s[66:67], s[60:61], s[66:67]             // inBounds & must try again
	;; [unrolled: 3-line block ×6, first 2 shown]
s_mov_b64 exec, s[76:77]                           // must try again
v_cmp_ne_u64 s[60:61], v[104:105], v[106:107]      // c read during atomic != c read during prior load
s_and_b64 s[76:77], s[60:61], s[76:77]             // inBounds & must try again
s_mov_b64 exec, s[78:79]                           // must try again
v_cmp_ne_u64 s[60:61], v[108:109], v[110:111]      // c read during atomic != c read during prior load
s_and_b64 s[78:79], s[60:61], s[78:79]             // inBounds & must try again
	;; [unrolled: 3-line block ×4, first 2 shown]

/* or masks to check for exit */
s_mov_b64 s[60:61], 0x0                            // empty mask
s_or_b64 s[60:61], s[64:65], s[60:61]              // or to add threads
s_or_b64 s[60:61], s[66:67], s[60:61]              // or to add threads
	;; [unrolled: 1-line block ×10, first 2 shown]
s_or_saveexec_b64 s[62:63], s[60:61]               // apply combined mask
s_cbranch_execnz label_0040                        // try again if not complete
label_0041:
s_mov_b64 exec, -1                                 // full mask -> exec
/* optSingleColVgpr=0 optSharedColVgpr=0 optSGPRUsage=None optSrdIncForRow=0 */

/******************************************/
/* Global Write Alpha Edge Batch #2 (d1,d0,vc1,vc0) = */
/*    (2,0,1,0:vw1:vaw:1); (2,0,1,1:vw1:vaw:1); (2,1,1,0:vw1:vaw:1); (2,1,1,1:vw1:vaw:1); (3,0,0,0:vw1:vaw:1); (3,0,0,1:vw1:vaw:1); (3,1,0,0:vw1:vaw:1); (3,1,0,1:vw1:vaw:1); (3,0,1,0:vw1:vaw:1); (3,0,1,1:vw1:vaw:1) */
/******************************************/

/* calc coords, apply mask, and issue loads (if necessary) */
/* (d1,vc1,d0,vc0)=(2,1,0,0) */
_v_add_co_u32 v65, vcc, v65, 1                     // coord1.1: coord1Vgpr += d1*sg1*VW + vc1

/* Fix for UseInitialStridesCD, emitAddressSetupCode */
_v_add_u32 v66, v66, s[sgprStrideC1J]              // ROWINC- Move cinRowPtr to next row
_v_add_u32 v67, v67, s[sgprStrideD1J]              // Move coutRowPtr to next row
v_cmp_lt_u32 s[60:61], v64, s[sgprSizeI]           // coord0 < size0
v_cmp_lt_u32 s[64:65], v65, s[sgprSizeJ]           // coord1 < size1
s_and_b64 s[64:65], s[60:61], s[64:65]             // in0 && in1
_v_add_lshl_u32 v70, v67, v64, 0x3                 // scaleToBpe: accumulate d0 lower and *= bpe into Cin addr
v_cndmask_b32 v70, -1, v70, s[64:65]               // LDD clip if OOB. offset
_buffer_load_b64 v[74:75], v70, s[sgprSrdD:sgprSrdD+3], 0, offen offset:0 // load D (atomic) bpm=8 vaw=1
/* (d1,vc1,d0,vc0)=(2,1,0,1) */
_v_add_co_u32 v68, vcc, v64, 1                     // coord0.1: coord0 += d0*sg0*VW + vc0
v_cmp_lt_u32 s[60:61], v68, s[sgprSizeI]           // coord0 < size0
v_cmp_lt_u32 s[66:67], v65, s[sgprSizeJ]           // coord1 < size1
s_and_b64 s[66:67], s[60:61], s[66:67]             // in0 && in1
_v_add_lshl_u32 v71, v67, v68, 0x3                 // scaleToBpe: accumulate d0 lower and *= bpe into Cin addr
v_cndmask_b32 v71, -1, v71, s[66:67]               // LDD clip if OOB. offset
_buffer_load_b64 v[78:79], v71, s[sgprSrdD:sgprSrdD+3], 0, offen offset:0 // load D (atomic) bpm=8 vaw=1
/* (d1,vc1,d0,vc0)=(2,1,1,0) */
_v_add_co_u32 v68, vcc, v64, 64                    // coord0.1: coord0 += d0*sg0*VW + vc0
v_cmp_lt_u32 s[60:61], v68, s[sgprSizeI]           // coord0 < size0
v_cmp_lt_u32 s[68:69], v65, s[sgprSizeJ]           // coord1 < size1
s_and_b64 s[68:69], s[60:61], s[68:69]             // in0 && in1
_v_add_lshl_u32 v80, v67, v68, 0x3                 // scaleToBpe: accumulate d0 lower and *= bpe into Cin addr
v_cndmask_b32 v80, -1, v80, s[68:69]               // LDD clip if OOB. offset
_buffer_load_b64 v[86:87], v80, s[sgprSrdD:sgprSrdD+3], 0, offen offset:0 // load D (atomic) bpm=8 vaw=1
/* (d1,vc1,d0,vc0)=(2,1,1,1) */
s_mov_b32 s60, 65                                  // coordOffset0 d0=1 vc0=1
_v_add_co_u32 v68, vcc, v64, s60                   // coord0.2: coord0 += d0*sg0*VW + vc0
v_cmp_lt_u32 s[60:61], v68, s[sgprSizeI]           // coord0 < size0
v_cmp_lt_u32 s[70:71], v65, s[sgprSizeJ]           // coord1 < size1
s_and_b64 s[70:71], s[60:61], s[70:71]             // in0 && in1
_v_add_lshl_u32 v81, v67, v68, 0x3                 // scaleToBpe: accumulate d0 lower and *= bpe into Cin addr
v_cndmask_b32 v81, -1, v81, s[70:71]               // LDD clip if OOB. offset
_buffer_load_b64 v[90:91], v81, s[sgprSrdD:sgprSrdD+3], 0, offen offset:0 // load D (atomic) bpm=8 vaw=1
/* (d1,vc1,d0,vc0)=(3,0,0,0) */
_v_add_co_u32 v65, vcc, v65, 31                    // coord1.1: coord1Vgpr += d1*sg1*VW + vc1

/* Fix for UseInitialStridesCD, emitAddressSetupCode */
s_mul_i32 s60, s[sgprStrideC1J], 31                // scale stride
_v_add_u32 v66, v66, s60                           // ROWINC- Move cinRowPtr to next row
s_mul_i32 s60, s[sgprStrideD1J], 31                // scale stride
_v_add_u32 v67, v67, s60                           // Move coutRowPtr to next row
v_cmp_lt_u32 s[60:61], v64, s[sgprSizeI]           // coord0 < size0
v_cmp_lt_u32 s[72:73], v65, s[sgprSizeJ]           // coord1 < size1
s_and_b64 s[72:73], s[60:61], s[72:73]             // in0 && in1
_v_add_lshl_u32 v82, v67, v64, 0x3                 // scaleToBpe: accumulate d0 lower and *= bpe into Cin addr
v_cndmask_b32 v82, -1, v82, s[72:73]               // LDD clip if OOB. offset
_buffer_load_b64 v[94:95], v82, s[sgprSrdD:sgprSrdD+3], 0, offen offset:0 // load D (atomic) bpm=8 vaw=1
/* (d1,vc1,d0,vc0)=(3,0,0,1) */
_v_add_co_u32 v68, vcc, v64, 1                     // coord0.1: coord0 += d0*sg0*VW + vc0
v_cmp_lt_u32 s[60:61], v68, s[sgprSizeI]           // coord0 < size0
v_cmp_lt_u32 s[74:75], v65, s[sgprSizeJ]           // coord1 < size1
s_and_b64 s[74:75], s[60:61], s[74:75]             // in0 && in1
_v_add_lshl_u32 v83, v67, v68, 0x3                 // scaleToBpe: accumulate d0 lower and *= bpe into Cin addr
v_cndmask_b32 v83, -1, v83, s[74:75]               // LDD clip if OOB. offset
_buffer_load_b64 v[98:99], v83, s[sgprSrdD:sgprSrdD+3], 0, offen offset:0 // load D (atomic) bpm=8 vaw=1
/* (d1,vc1,d0,vc0)=(3,0,1,0) */
_v_add_co_u32 v68, vcc, v64, 64                    // coord0.1: coord0 += d0*sg0*VW + vc0
v_cmp_lt_u32 s[60:61], v68, s[sgprSizeI]           // coord0 < size0
v_cmp_lt_u32 s[76:77], v65, s[sgprSizeJ]           // coord1 < size1
s_and_b64 s[76:77], s[60:61], s[76:77]             // in0 && in1
_v_add_lshl_u32 v100, v67, v68, 0x3                // scaleToBpe: accumulate d0 lower and *= bpe into Cin addr
v_cndmask_b32 v100, -1, v100, s[76:77]             // LDD clip if OOB. offset
_buffer_load_b64 v[106:107], v100, s[sgprSrdD:sgprSrdD+3], 0, offen offset:0 // load D (atomic) bpm=8 vaw=1
/* (d1,vc1,d0,vc0)=(3,0,1,1) */
s_mov_b32 s60, 65                                  // coordOffset0 d0=1 vc0=1
_v_add_co_u32 v68, vcc, v64, s60                   // coord0.2: coord0 += d0*sg0*VW + vc0
v_cmp_lt_u32 s[60:61], v68, s[sgprSizeI]           // coord0 < size0
v_cmp_lt_u32 s[78:79], v65, s[sgprSizeJ]           // coord1 < size1
s_and_b64 s[78:79], s[60:61], s[78:79]             // in0 && in1
_v_add_lshl_u32 v101, v67, v68, 0x3                // scaleToBpe: accumulate d0 lower and *= bpe into Cin addr
v_cndmask_b32 v101, -1, v101, s[78:79]             // LDD clip if OOB. offset
_buffer_load_b64 v[110:111], v101, s[sgprSrdD:sgprSrdD+3], 0, offen offset:0 // load D (atomic) bpm=8 vaw=1
/* (d1,vc1,d0,vc0)=(3,1,0,0) */
_v_add_co_u32 v65, vcc, v65, 1                     // coord1.1: coord1Vgpr += d1*sg1*VW + vc1

/* Fix for UseInitialStridesCD, emitAddressSetupCode */
_v_add_u32 v66, v66, s[sgprStrideC1J]              // ROWINC- Move cinRowPtr to next row
_v_add_u32 v67, v67, s[sgprStrideD1J]              // Move coutRowPtr to next row
v_cmp_lt_u32 s[60:61], v64, s[sgprSizeI]           // coord0 < size0
v_cmp_lt_u32 s[80:81], v65, s[sgprSizeJ]           // coord1 < size1
s_and_b64 s[80:81], s[60:61], s[80:81]             // in0 && in1
_v_add_lshl_u32 v102, v67, v64, 0x3                // scaleToBpe: accumulate d0 lower and *= bpe into Cin addr
v_cndmask_b32 v102, -1, v102, s[80:81]             // LDD clip if OOB. offset
_buffer_load_b64 v[114:115], v102, s[sgprSrdD:sgprSrdD+3], 0, offen offset:0 // load D (atomic) bpm=8 vaw=1
/* (d1,vc1,d0,vc0)=(3,1,0,1) */
_v_add_co_u32 v68, vcc, v64, 1                     // coord0.1: coord0 += d0*sg0*VW + vc0
v_cmp_lt_u32 s[60:61], v68, s[sgprSizeI]           // coord0 < size0
v_cmp_lt_u32 s[82:83], v65, s[sgprSizeJ]           // coord1 < size1
s_and_b64 s[82:83], s[60:61], s[82:83]             // in0 && in1
_v_add_lshl_u32 v103, v67, v68, 0x3                // scaleToBpe: accumulate d0 lower and *= bpe into Cin addr
v_cndmask_b32 v103, -1, v103, s[82:83]             // LDD clip if OOB. offset
_buffer_load_b64 v[118:119], v103, s[sgprSrdD:sgprSrdD+3], 0, offen offset:0 // load D (atomic) bpm=8 vaw=1

/* rC *= alpha batchElements=[(2, 0, 1, 0), (2, 0, 1, 1), (2, 1, 1, 0), (2, 1, 1, 1), (3, 0, 0, 0), (3, 0, 0, 1), (3, 1, 0, 0), (3, 1, 0, 1), (3, 0, 1, 0), (3, 0, 1, 1)] */
v_mul_f64 v[vgprValuC+40:vgprValuC+40+1], s[sgprAlpha:sgprAlpha+1], v[vgprValuC+40:vgprValuC+40+1] // *= alpha
v_mul_f64 v[vgprValuC+42:vgprValuC+42+1], s[sgprAlpha:sgprAlpha+1], v[vgprValuC+42:vgprValuC+42+1] // *= alpha
	;; [unrolled: 1-line block ×10, first 2 shown]
s_waitcnt vmcnt(0)                                 // wait C (atomic)

/* issue first atomic writes */
s_mov_b64 exec, s[64:65]                           // sgprs -> exec (before atomic)
v_add_f64 v[72:73], v[74:75], v[vgprValuC+40:vgprValuC+40+1] // desired value
_buffer_atomic_cmpswap_b64 v[72:75], v70, s[sgprSrdD:sgprSrdD+3] 0 offen offset:0 glc   // attempt write
s_mov_b64 exec, s[66:67]                           // sgprs -> exec (before atomic)
v_add_f64 v[76:77], v[78:79], v[vgprValuC+42:vgprValuC+42+1] // desired value
_buffer_atomic_cmpswap_b64 v[76:79], v71, s[sgprSrdD:sgprSrdD+3] 0 offen offset:0 glc   // attempt write
	;; [unrolled: 3-line block ×10, first 2 shown]
s_waitcnt vmcnt(0)                                 // wait for atomic writes

/* check success of writes, update masks */
s_mov_b64 exec, s[64:65]                           // sgprs -> exec
v_cmp_ne_u64 s[60:61], v[72:73], v[74:75]          // c read during atomic != c read during prior load
s_and_b64 s[64:65], s[60:61], s[64:65]             // inBounds & must try again
s_mov_b64 exec, s[66:67]                           // sgprs -> exec
v_cmp_ne_u64 s[60:61], v[76:77], v[78:79]          // c read during atomic != c read during prior load
s_and_b64 s[66:67], s[60:61], s[66:67]             // inBounds & must try again
	;; [unrolled: 3-line block ×6, first 2 shown]
s_mov_b64 exec, s[76:77]                           // sgprs -> exec
v_cmp_ne_u64 s[60:61], v[104:105], v[106:107]      // c read during atomic != c read during prior load
s_and_b64 s[76:77], s[60:61], s[76:77]             // inBounds & must try again
s_mov_b64 exec, s[78:79]                           // sgprs -> exec
v_cmp_ne_u64 s[60:61], v[108:109], v[110:111]      // c read during atomic != c read during prior load
s_and_b64 s[78:79], s[60:61], s[78:79]             // inBounds & must try again
	;; [unrolled: 3-line block ×4, first 2 shown]

/* or masks to check for exit */
s_mov_b64 s[60:61], 0x0                            // empty mask
s_or_b64 s[60:61], s[64:65], s[60:61]              // or to add threads
s_or_b64 s[60:61], s[66:67], s[60:61]              // or to add threads
	;; [unrolled: 1-line block ×10, first 2 shown]
s_or_saveexec_b64 s[62:63], s[60:61]               // apply combined mask
s_cbranch_execz label_0043                         // if exec is zero skip loop

/* atomic CAS loop */
label_0042:

/* apply updated masks and issue writes again */
s_mov_b64 exec, s[64:65]                           // must try again
v_mov_b32 v74, v72                                 // dataV+2 = tmp (new original C)
v_mov_b32 v75, v73                                 // dataV+3 = tmp (new original C)
v_add_f64 v[72:73], v[74:75], v[vgprValuC+40:vgprValuC+40+1] // newC = rC + originalC
_buffer_atomic_cmpswap_b64 v[72:75], v70, s[sgprSrdD:sgprSrdD+3] 0 offen offset:0 glc   // attempt write
s_mov_b64 exec, s[66:67]                           // must try again
v_mov_b32 v78, v76                                 // dataV+2 = tmp (new original C)
v_mov_b32 v79, v77                                 // dataV+3 = tmp (new original C)
v_add_f64 v[76:77], v[78:79], v[vgprValuC+42:vgprValuC+42+1] // newC = rC + originalC
_buffer_atomic_cmpswap_b64 v[76:79], v71, s[sgprSrdD:sgprSrdD+3] 0 offen offset:0 glc   // attempt write
	;; [unrolled: 5-line block ×6, first 2 shown]
s_mov_b64 exec, s[76:77]                           // must try again
v_mov_b32 v106, v104                               // dataV+2 = tmp (new original C)
v_mov_b32 v107, v105                               // dataV+3 = tmp (new original C)
v_add_f64 v[104:105], v[106:107], v[vgprValuC+52:vgprValuC+52+1] // newC = rC + originalC
_buffer_atomic_cmpswap_b64 v[104:107], v100, s[sgprSrdD:sgprSrdD+3] 0 offen offset:0 glc   // attempt write
s_mov_b64 exec, s[78:79]                           // must try again
v_mov_b32 v110, v108                               // dataV+2 = tmp (new original C)
v_mov_b32 v111, v109                               // dataV+3 = tmp (new original C)
v_add_f64 v[108:109], v[110:111], v[vgprValuC+54:vgprValuC+54+1] // newC = rC + originalC
_buffer_atomic_cmpswap_b64 v[108:111], v101, s[sgprSrdD:sgprSrdD+3] 0 offen offset:0 glc   // attempt write
	;; [unrolled: 5-line block ×4, first 2 shown]
s_waitcnt vmcnt(0)                                 // wait for atomic writes

/* apply masks and check for success */
s_mov_b64 exec, s[64:65]                           // must try again
v_cmp_ne_u64 s[60:61], v[72:73], v[74:75]          // c read during atomic != c read during prior load
s_and_b64 s[64:65], s[60:61], s[64:65]             // inBounds & must try again
s_mov_b64 exec, s[66:67]                           // must try again
v_cmp_ne_u64 s[60:61], v[76:77], v[78:79]          // c read during atomic != c read during prior load
s_and_b64 s[66:67], s[60:61], s[66:67]             // inBounds & must try again
	;; [unrolled: 3-line block ×6, first 2 shown]
s_mov_b64 exec, s[76:77]                           // must try again
v_cmp_ne_u64 s[60:61], v[104:105], v[106:107]      // c read during atomic != c read during prior load
s_and_b64 s[76:77], s[60:61], s[76:77]             // inBounds & must try again
s_mov_b64 exec, s[78:79]                           // must try again
v_cmp_ne_u64 s[60:61], v[108:109], v[110:111]      // c read during atomic != c read during prior load
s_and_b64 s[78:79], s[60:61], s[78:79]             // inBounds & must try again
	;; [unrolled: 3-line block ×4, first 2 shown]

/* or masks to check for exit */
s_mov_b64 s[60:61], 0x0                            // empty mask
s_or_b64 s[60:61], s[64:65], s[60:61]              // or to add threads
s_or_b64 s[60:61], s[66:67], s[60:61]              // or to add threads
	;; [unrolled: 1-line block ×10, first 2 shown]
s_or_saveexec_b64 s[62:63], s[60:61]               // apply combined mask
s_cbranch_execnz label_0042                        // try again if not complete
label_0043:
s_mov_b64 exec, -1                                 // full mask -> exec
/* optSingleColVgpr=0 optSharedColVgpr=0 optSGPRUsage=None optSrdIncForRow=0 */

/******************************************/
/* Global Write Alpha Edge Batch #3 (d1,d0,vc1,vc0) = */
/*    (3,1,1,0:vw1:vaw:1); (3,1,1,1:vw1:vaw:1) */
/******************************************/

/* calc coords, apply mask, and issue loads (if necessary) */
/* (d1,vc1,d0,vc0)=(3,1,1,0) */
_v_add_co_u32 v68, vcc, v64, 64                    // coord0.1: coord0 += d0*sg0*VW + vc0
v_cmp_lt_u32 s[60:61], v68, s[sgprSizeI]           // coord0 < size0
v_cmp_lt_u32 s[64:65], v65, s[sgprSizeJ]           // coord1 < size1
s_and_b64 s[64:65], s[60:61], s[64:65]             // in0 && in1
_v_add_lshl_u32 v70, v67, v68, 0x3                 // scaleToBpe: accumulate d0 lower and *= bpe into Cin addr
v_cndmask_b32 v70, -1, v70, s[64:65]               // LDD clip if OOB. offset
_buffer_load_b64 v[74:75], v70, s[sgprSrdD:sgprSrdD+3], 0, offen offset:0 // load D (atomic) bpm=8 vaw=1
/* (d1,vc1,d0,vc0)=(3,1,1,1) */
s_mov_b32 s60, 65                                  // coordOffset0 d0=1 vc0=1
_v_add_co_u32 v68, vcc, v64, s60                   // coord0.2: coord0 += d0*sg0*VW + vc0
v_cmp_lt_u32 s[60:61], v68, s[sgprSizeI]           // coord0 < size0
v_cmp_lt_u32 s[66:67], v65, s[sgprSizeJ]           // coord1 < size1
s_and_b64 s[66:67], s[60:61], s[66:67]             // in0 && in1
_v_add_lshl_u32 v71, v67, v68, 0x3                 // scaleToBpe: accumulate d0 lower and *= bpe into Cin addr
v_cndmask_b32 v71, -1, v71, s[66:67]               // LDD clip if OOB. offset
_buffer_load_b64 v[78:79], v71, s[sgprSrdD:sgprSrdD+3], 0, offen offset:0 // load D (atomic) bpm=8 vaw=1

/* rC *= alpha batchElements=[(3, 1, 1, 0), (3, 1, 1, 1)] */
v_mul_f64 v[vgprValuC+60:vgprValuC+60+1], s[sgprAlpha:sgprAlpha+1], v[vgprValuC+60:vgprValuC+60+1] // *= alpha
v_mul_f64 v[vgprValuC+62:vgprValuC+62+1], s[sgprAlpha:sgprAlpha+1], v[vgprValuC+62:vgprValuC+62+1] // *= alpha
s_waitcnt vmcnt(0)                                 // wait C (atomic)

/* issue first atomic writes */
s_mov_b64 exec, s[64:65]                           // sgprs -> exec (before atomic)
v_add_f64 v[72:73], v[74:75], v[vgprValuC+60:vgprValuC+60+1] // desired value
_buffer_atomic_cmpswap_b64 v[72:75], v70, s[sgprSrdD:sgprSrdD+3] 0 offen offset:0 glc   // attempt write
s_mov_b64 exec, s[66:67]                           // sgprs -> exec (before atomic)
v_add_f64 v[76:77], v[78:79], v[vgprValuC+62:vgprValuC+62+1] // desired value
_buffer_atomic_cmpswap_b64 v[76:79], v71, s[sgprSrdD:sgprSrdD+3] 0 offen offset:0 glc   // attempt write
s_waitcnt vmcnt(0)                                 // wait for atomic writes

/* check success of writes, update masks */
s_mov_b64 exec, s[64:65]                           // sgprs -> exec
v_cmp_ne_u64 s[60:61], v[72:73], v[74:75]          // c read during atomic != c read during prior load
s_and_b64 s[64:65], s[60:61], s[64:65]             // inBounds & must try again
s_mov_b64 exec, s[66:67]                           // sgprs -> exec
v_cmp_ne_u64 s[60:61], v[76:77], v[78:79]          // c read during atomic != c read during prior load
s_and_b64 s[66:67], s[60:61], s[66:67]             // inBounds & must try again

/* or masks to check for exit */
s_mov_b64 s[60:61], 0x0                            // empty mask
s_or_b64 s[60:61], s[64:65], s[60:61]              // or to add threads
s_or_b64 s[60:61], s[66:67], s[60:61]              // or to add threads
s_or_saveexec_b64 s[62:63], s[60:61]               // apply combined mask
s_cbranch_execz label_0045                         // if exec is zero skip loop

/* atomic CAS loop */
label_0044:

/* apply updated masks and issue writes again */
s_mov_b64 exec, s[64:65]                           // must try again
v_mov_b32 v74, v72                                 // dataV+2 = tmp (new original C)
v_mov_b32 v75, v73                                 // dataV+3 = tmp (new original C)
v_add_f64 v[72:73], v[74:75], v[vgprValuC+60:vgprValuC+60+1] // newC = rC + originalC
_buffer_atomic_cmpswap_b64 v[72:75], v70, s[sgprSrdD:sgprSrdD+3] 0 offen offset:0 glc   // attempt write
s_mov_b64 exec, s[66:67]                           // must try again
v_mov_b32 v78, v76                                 // dataV+2 = tmp (new original C)
v_mov_b32 v79, v77                                 // dataV+3 = tmp (new original C)
v_add_f64 v[76:77], v[78:79], v[vgprValuC+62:vgprValuC+62+1] // newC = rC + originalC
_buffer_atomic_cmpswap_b64 v[76:79], v71, s[sgprSrdD:sgprSrdD+3] 0 offen offset:0 glc   // attempt write
s_waitcnt vmcnt(0)                                 // wait for atomic writes

/* apply masks and check for success */
s_mov_b64 exec, s[64:65]                           // must try again
v_cmp_ne_u64 s[60:61], v[72:73], v[74:75]          // c read during atomic != c read during prior load
s_and_b64 s[64:65], s[60:61], s[64:65]             // inBounds & must try again
s_mov_b64 exec, s[66:67]                           // must try again
v_cmp_ne_u64 s[60:61], v[76:77], v[78:79]          // c read during atomic != c read during prior load
s_and_b64 s[66:67], s[60:61], s[66:67]             // inBounds & must try again

/* or masks to check for exit */
s_mov_b64 s[60:61], 0x0                            // empty mask
s_or_b64 s[60:61], s[64:65], s[60:61]              // or to add threads
s_or_b64 s[60:61], s[66:67], s[60:61]              // or to add threads
s_or_saveexec_b64 s[62:63], s[60:61]               // apply combined mask
s_cbranch_execnz label_0044                        // try again if not complete
label_0045:
s_mov_b64 exec, -1                                 // full mask -> exec
s_branch label_GW_End_25                           // jump to end
label_GW_End_25:

label_0046:  /// KernelEnd
s_endpgm                                           // Kernel End

